;; amdgpu-corpus repo=ROCm/hipCUB kind=compiled arch=gfx1250 opt=O3
	.amdgcn_target "amdgcn-amd-amdhsa--gfx1250"
	.amdhsa_code_object_version 6
	.section	.text._Z6kernelI18blocked_to_stripediLj256ELj1ELj100EEvPKT0_PKjPS1_,"axG",@progbits,_Z6kernelI18blocked_to_stripediLj256ELj1ELj100EEvPKT0_PKjPS1_,comdat
	.protected	_Z6kernelI18blocked_to_stripediLj256ELj1ELj100EEvPKT0_PKjPS1_ ; -- Begin function _Z6kernelI18blocked_to_stripediLj256ELj1ELj100EEvPKT0_PKjPS1_
	.globl	_Z6kernelI18blocked_to_stripediLj256ELj1ELj100EEvPKT0_PKjPS1_
	.p2align	8
	.type	_Z6kernelI18blocked_to_stripediLj256ELj1ELj100EEvPKT0_PKjPS1_,@function
_Z6kernelI18blocked_to_stripediLj256ELj1ELj100EEvPKT0_PKjPS1_: ; @_Z6kernelI18blocked_to_stripediLj256ELj1ELj100EEvPKT0_PKjPS1_
; %bb.0:
	s_load_b64 s[4:5], s[0:1], 0x0
	s_bfe_u32 s2, ttmp6, 0x4000c
	s_and_b32 s3, ttmp6, 15
	s_add_co_i32 s2, s2, 1
	s_getreg_b32 s6, hwreg(HW_REG_IB_STS2, 6, 4)
	s_mul_i32 s2, ttmp9, s2
	v_lshlrev_b32_e32 v1, 2, v0
	s_add_co_i32 s3, s3, s2
	s_cmp_eq_u32 s6, 0
	s_cselect_b32 s2, ttmp9, s3
	s_mov_b32 s3, 0
	s_lshl_b32 s2, s2, 8
	s_delay_alu instid0(SALU_CYCLE_1)
	s_lshl_b64 s[2:3], s[2:3], 2
	s_wait_kmcnt 0x0
	s_add_nc_u64 s[4:5], s[4:5], s[2:3]
	global_load_b32 v2, v0, s[4:5] scale_offset
	s_wait_xcnt 0x0
	s_movk_i32 s4, 0x64
.LBB0_1:                                ; =>This Inner Loop Header: Depth=1
	s_wait_loadcnt 0x0
	ds_store_b32 v1, v2
	s_wait_dscnt 0x0
	s_barrier_signal -1
	s_barrier_wait -1
	ds_load_b32 v2, v1
	s_add_co_i32 s4, s4, -1
	s_wait_dscnt 0x0
	s_cmp_lg_u32 s4, 0
	s_barrier_signal -1
	s_barrier_wait -1
	s_cbranch_scc1 .LBB0_1
; %bb.2:
	s_load_b64 s[0:1], s[0:1], 0x10
	s_wait_kmcnt 0x0
	s_add_nc_u64 s[0:1], s[0:1], s[2:3]
	global_store_b32 v0, v2, s[0:1] scale_offset
	s_endpgm
	.section	.rodata,"a",@progbits
	.p2align	6, 0x0
	.amdhsa_kernel _Z6kernelI18blocked_to_stripediLj256ELj1ELj100EEvPKT0_PKjPS1_
		.amdhsa_group_segment_fixed_size 1024
		.amdhsa_private_segment_fixed_size 0
		.amdhsa_kernarg_size 24
		.amdhsa_user_sgpr_count 2
		.amdhsa_user_sgpr_dispatch_ptr 0
		.amdhsa_user_sgpr_queue_ptr 0
		.amdhsa_user_sgpr_kernarg_segment_ptr 1
		.amdhsa_user_sgpr_dispatch_id 0
		.amdhsa_user_sgpr_kernarg_preload_length 0
		.amdhsa_user_sgpr_kernarg_preload_offset 0
		.amdhsa_user_sgpr_private_segment_size 0
		.amdhsa_wavefront_size32 1
		.amdhsa_uses_dynamic_stack 0
		.amdhsa_enable_private_segment 0
		.amdhsa_system_sgpr_workgroup_id_x 1
		.amdhsa_system_sgpr_workgroup_id_y 0
		.amdhsa_system_sgpr_workgroup_id_z 0
		.amdhsa_system_sgpr_workgroup_info 0
		.amdhsa_system_vgpr_workitem_id 0
		.amdhsa_next_free_vgpr 3
		.amdhsa_next_free_sgpr 7
		.amdhsa_named_barrier_count 0
		.amdhsa_reserve_vcc 0
		.amdhsa_float_round_mode_32 0
		.amdhsa_float_round_mode_16_64 0
		.amdhsa_float_denorm_mode_32 3
		.amdhsa_float_denorm_mode_16_64 3
		.amdhsa_fp16_overflow 0
		.amdhsa_memory_ordered 1
		.amdhsa_forward_progress 1
		.amdhsa_inst_pref_size 2
		.amdhsa_round_robin_scheduling 0
		.amdhsa_exception_fp_ieee_invalid_op 0
		.amdhsa_exception_fp_denorm_src 0
		.amdhsa_exception_fp_ieee_div_zero 0
		.amdhsa_exception_fp_ieee_overflow 0
		.amdhsa_exception_fp_ieee_underflow 0
		.amdhsa_exception_fp_ieee_inexact 0
		.amdhsa_exception_int_div_zero 0
	.end_amdhsa_kernel
	.section	.text._Z6kernelI18blocked_to_stripediLj256ELj1ELj100EEvPKT0_PKjPS1_,"axG",@progbits,_Z6kernelI18blocked_to_stripediLj256ELj1ELj100EEvPKT0_PKjPS1_,comdat
.Lfunc_end0:
	.size	_Z6kernelI18blocked_to_stripediLj256ELj1ELj100EEvPKT0_PKjPS1_, .Lfunc_end0-_Z6kernelI18blocked_to_stripediLj256ELj1ELj100EEvPKT0_PKjPS1_
                                        ; -- End function
	.set _Z6kernelI18blocked_to_stripediLj256ELj1ELj100EEvPKT0_PKjPS1_.num_vgpr, 3
	.set _Z6kernelI18blocked_to_stripediLj256ELj1ELj100EEvPKT0_PKjPS1_.num_agpr, 0
	.set _Z6kernelI18blocked_to_stripediLj256ELj1ELj100EEvPKT0_PKjPS1_.numbered_sgpr, 7
	.set _Z6kernelI18blocked_to_stripediLj256ELj1ELj100EEvPKT0_PKjPS1_.num_named_barrier, 0
	.set _Z6kernelI18blocked_to_stripediLj256ELj1ELj100EEvPKT0_PKjPS1_.private_seg_size, 0
	.set _Z6kernelI18blocked_to_stripediLj256ELj1ELj100EEvPKT0_PKjPS1_.uses_vcc, 0
	.set _Z6kernelI18blocked_to_stripediLj256ELj1ELj100EEvPKT0_PKjPS1_.uses_flat_scratch, 0
	.set _Z6kernelI18blocked_to_stripediLj256ELj1ELj100EEvPKT0_PKjPS1_.has_dyn_sized_stack, 0
	.set _Z6kernelI18blocked_to_stripediLj256ELj1ELj100EEvPKT0_PKjPS1_.has_recursion, 0
	.set _Z6kernelI18blocked_to_stripediLj256ELj1ELj100EEvPKT0_PKjPS1_.has_indirect_call, 0
	.section	.AMDGPU.csdata,"",@progbits
; Kernel info:
; codeLenInByte = 180
; TotalNumSgprs: 7
; NumVgprs: 3
; ScratchSize: 0
; MemoryBound: 0
; FloatMode: 240
; IeeeMode: 1
; LDSByteSize: 1024 bytes/workgroup (compile time only)
; SGPRBlocks: 0
; VGPRBlocks: 0
; NumSGPRsForWavesPerEU: 7
; NumVGPRsForWavesPerEU: 3
; NamedBarCnt: 0
; Occupancy: 16
; WaveLimiterHint : 0
; COMPUTE_PGM_RSRC2:SCRATCH_EN: 0
; COMPUTE_PGM_RSRC2:USER_SGPR: 2
; COMPUTE_PGM_RSRC2:TRAP_HANDLER: 0
; COMPUTE_PGM_RSRC2:TGID_X_EN: 1
; COMPUTE_PGM_RSRC2:TGID_Y_EN: 0
; COMPUTE_PGM_RSRC2:TGID_Z_EN: 0
; COMPUTE_PGM_RSRC2:TIDIG_COMP_CNT: 0
	.section	.text._Z6kernelI18blocked_to_stripediLj256ELj2ELj100EEvPKT0_PKjPS1_,"axG",@progbits,_Z6kernelI18blocked_to_stripediLj256ELj2ELj100EEvPKT0_PKjPS1_,comdat
	.protected	_Z6kernelI18blocked_to_stripediLj256ELj2ELj100EEvPKT0_PKjPS1_ ; -- Begin function _Z6kernelI18blocked_to_stripediLj256ELj2ELj100EEvPKT0_PKjPS1_
	.globl	_Z6kernelI18blocked_to_stripediLj256ELj2ELj100EEvPKT0_PKjPS1_
	.p2align	8
	.type	_Z6kernelI18blocked_to_stripediLj256ELj2ELj100EEvPKT0_PKjPS1_,@function
_Z6kernelI18blocked_to_stripediLj256ELj2ELj100EEvPKT0_PKjPS1_: ; @_Z6kernelI18blocked_to_stripediLj256ELj2ELj100EEvPKT0_PKjPS1_
; %bb.0:
	s_load_b64 s[4:5], s[0:1], 0x0
	s_bfe_u32 s2, ttmp6, 0x4000c
	s_and_b32 s3, ttmp6, 15
	s_add_co_i32 s2, s2, 1
	s_getreg_b32 s6, hwreg(HW_REG_IB_STS2, 6, 4)
	s_mul_i32 s2, ttmp9, s2
	v_or_b32_e32 v1, 0x100, v0
	s_add_co_i32 s3, s3, s2
	s_cmp_eq_u32 s6, 0
	v_dual_lshrrev_b32 v4, 2, v0 :: v_dual_lshrrev_b32 v5, 3, v0
	s_cselect_b32 s2, ttmp9, s3
	s_mov_b32 s3, 0
	s_lshl_b32 s2, s2, 9
	s_delay_alu instid0(VALU_DEP_1) | instskip(SKIP_2) | instid1(VALU_DEP_2)
	v_dual_lshrrev_b32 v1, 3, v1 :: v_dual_bitop2_b32 v4, 60, v4 bitop3:0x40
	s_lshl_b64 s[2:3], s[2:3], 2
	v_dual_lshlrev_b32 v6, 2, v0 :: v_dual_bitop2_b32 v5, 28, v5 bitop3:0x40
	v_and_b32_e32 v7, 60, v1
	s_wait_kmcnt 0x0
	s_add_nc_u64 s[4:5], s[4:5], s[2:3]
	v_lshl_add_u32 v1, v0, 3, v4
	global_load_b64 v[2:3], v0, s[4:5] scale_offset
	v_dual_add_nc_u32 v4, v5, v6 :: v_dual_add_nc_u32 v5, v7, v6
	s_wait_xcnt 0x0
	s_movk_i32 s4, 0x64
.LBB1_1:                                ; =>This Inner Loop Header: Depth=1
	s_wait_loadcnt 0x0
	ds_store_2addr_b32 v1, v2, v3 offset1:1
	s_wait_dscnt 0x0
	s_barrier_signal -1
	s_barrier_wait -1
	ds_load_b32 v2, v4
	ds_load_b32 v3, v5 offset:1024
	s_add_co_i32 s4, s4, -1
	s_wait_dscnt 0x0
	s_cmp_lg_u32 s4, 0
	s_barrier_signal -1
	s_barrier_wait -1
	s_cbranch_scc1 .LBB1_1
; %bb.2:
	s_load_b64 s[0:1], s[0:1], 0x10
	s_wait_kmcnt 0x0
	s_add_nc_u64 s[0:1], s[0:1], s[2:3]
	s_clause 0x1
	global_store_b32 v0, v2, s[0:1] scale_offset
	global_store_b32 v0, v3, s[0:1] offset:1024 scale_offset
	s_endpgm
	.section	.rodata,"a",@progbits
	.p2align	6, 0x0
	.amdhsa_kernel _Z6kernelI18blocked_to_stripediLj256ELj2ELj100EEvPKT0_PKjPS1_
		.amdhsa_group_segment_fixed_size 2112
		.amdhsa_private_segment_fixed_size 0
		.amdhsa_kernarg_size 24
		.amdhsa_user_sgpr_count 2
		.amdhsa_user_sgpr_dispatch_ptr 0
		.amdhsa_user_sgpr_queue_ptr 0
		.amdhsa_user_sgpr_kernarg_segment_ptr 1
		.amdhsa_user_sgpr_dispatch_id 0
		.amdhsa_user_sgpr_kernarg_preload_length 0
		.amdhsa_user_sgpr_kernarg_preload_offset 0
		.amdhsa_user_sgpr_private_segment_size 0
		.amdhsa_wavefront_size32 1
		.amdhsa_uses_dynamic_stack 0
		.amdhsa_enable_private_segment 0
		.amdhsa_system_sgpr_workgroup_id_x 1
		.amdhsa_system_sgpr_workgroup_id_y 0
		.amdhsa_system_sgpr_workgroup_id_z 0
		.amdhsa_system_sgpr_workgroup_info 0
		.amdhsa_system_vgpr_workitem_id 0
		.amdhsa_next_free_vgpr 8
		.amdhsa_next_free_sgpr 7
		.amdhsa_named_barrier_count 0
		.amdhsa_reserve_vcc 0
		.amdhsa_float_round_mode_32 0
		.amdhsa_float_round_mode_16_64 0
		.amdhsa_float_denorm_mode_32 3
		.amdhsa_float_denorm_mode_16_64 3
		.amdhsa_fp16_overflow 0
		.amdhsa_memory_ordered 1
		.amdhsa_forward_progress 1
		.amdhsa_inst_pref_size 3
		.amdhsa_round_robin_scheduling 0
		.amdhsa_exception_fp_ieee_invalid_op 0
		.amdhsa_exception_fp_denorm_src 0
		.amdhsa_exception_fp_ieee_div_zero 0
		.amdhsa_exception_fp_ieee_overflow 0
		.amdhsa_exception_fp_ieee_underflow 0
		.amdhsa_exception_fp_ieee_inexact 0
		.amdhsa_exception_int_div_zero 0
	.end_amdhsa_kernel
	.section	.text._Z6kernelI18blocked_to_stripediLj256ELj2ELj100EEvPKT0_PKjPS1_,"axG",@progbits,_Z6kernelI18blocked_to_stripediLj256ELj2ELj100EEvPKT0_PKjPS1_,comdat
.Lfunc_end1:
	.size	_Z6kernelI18blocked_to_stripediLj256ELj2ELj100EEvPKT0_PKjPS1_, .Lfunc_end1-_Z6kernelI18blocked_to_stripediLj256ELj2ELj100EEvPKT0_PKjPS1_
                                        ; -- End function
	.set _Z6kernelI18blocked_to_stripediLj256ELj2ELj100EEvPKT0_PKjPS1_.num_vgpr, 8
	.set _Z6kernelI18blocked_to_stripediLj256ELj2ELj100EEvPKT0_PKjPS1_.num_agpr, 0
	.set _Z6kernelI18blocked_to_stripediLj256ELj2ELj100EEvPKT0_PKjPS1_.numbered_sgpr, 7
	.set _Z6kernelI18blocked_to_stripediLj256ELj2ELj100EEvPKT0_PKjPS1_.num_named_barrier, 0
	.set _Z6kernelI18blocked_to_stripediLj256ELj2ELj100EEvPKT0_PKjPS1_.private_seg_size, 0
	.set _Z6kernelI18blocked_to_stripediLj256ELj2ELj100EEvPKT0_PKjPS1_.uses_vcc, 0
	.set _Z6kernelI18blocked_to_stripediLj256ELj2ELj100EEvPKT0_PKjPS1_.uses_flat_scratch, 0
	.set _Z6kernelI18blocked_to_stripediLj256ELj2ELj100EEvPKT0_PKjPS1_.has_dyn_sized_stack, 0
	.set _Z6kernelI18blocked_to_stripediLj256ELj2ELj100EEvPKT0_PKjPS1_.has_recursion, 0
	.set _Z6kernelI18blocked_to_stripediLj256ELj2ELj100EEvPKT0_PKjPS1_.has_indirect_call, 0
	.section	.AMDGPU.csdata,"",@progbits
; Kernel info:
; codeLenInByte = 268
; TotalNumSgprs: 7
; NumVgprs: 8
; ScratchSize: 0
; MemoryBound: 0
; FloatMode: 240
; IeeeMode: 1
; LDSByteSize: 2112 bytes/workgroup (compile time only)
; SGPRBlocks: 0
; VGPRBlocks: 0
; NumSGPRsForWavesPerEU: 7
; NumVGPRsForWavesPerEU: 8
; NamedBarCnt: 0
; Occupancy: 16
; WaveLimiterHint : 1
; COMPUTE_PGM_RSRC2:SCRATCH_EN: 0
; COMPUTE_PGM_RSRC2:USER_SGPR: 2
; COMPUTE_PGM_RSRC2:TRAP_HANDLER: 0
; COMPUTE_PGM_RSRC2:TGID_X_EN: 1
; COMPUTE_PGM_RSRC2:TGID_Y_EN: 0
; COMPUTE_PGM_RSRC2:TGID_Z_EN: 0
; COMPUTE_PGM_RSRC2:TIDIG_COMP_CNT: 0
	.section	.text._Z6kernelI18blocked_to_stripediLj256ELj3ELj100EEvPKT0_PKjPS1_,"axG",@progbits,_Z6kernelI18blocked_to_stripediLj256ELj3ELj100EEvPKT0_PKjPS1_,comdat
	.protected	_Z6kernelI18blocked_to_stripediLj256ELj3ELj100EEvPKT0_PKjPS1_ ; -- Begin function _Z6kernelI18blocked_to_stripediLj256ELj3ELj100EEvPKT0_PKjPS1_
	.globl	_Z6kernelI18blocked_to_stripediLj256ELj3ELj100EEvPKT0_PKjPS1_
	.p2align	8
	.type	_Z6kernelI18blocked_to_stripediLj256ELj3ELj100EEvPKT0_PKjPS1_,@function
_Z6kernelI18blocked_to_stripediLj256ELj3ELj100EEvPKT0_PKjPS1_: ; @_Z6kernelI18blocked_to_stripediLj256ELj3ELj100EEvPKT0_PKjPS1_
; %bb.0:
	s_load_b64 s[4:5], s[0:1], 0x0
	s_bfe_u32 s2, ttmp6, 0x4000c
	s_and_b32 s3, ttmp6, 15
	s_add_co_i32 s2, s2, 1
	s_getreg_b32 s6, hwreg(HW_REG_IB_STS2, 6, 4)
	s_mul_i32 s2, ttmp9, s2
	v_mul_u32_u24_e32 v1, 3, v0
	s_add_co_i32 s3, s3, s2
	s_cmp_eq_u32 s6, 0
	v_lshlrev_b32_e32 v5, 3, v0
	s_cselect_b32 s2, ttmp9, s3
	s_mov_b32 s3, 0
	s_mulk_i32 s2, 0x300
	v_lshlrev_b32_e32 v1, 2, v1
	s_lshl_b64 s[2:3], s[2:3], 2
	v_sub_nc_u32_e32 v5, 0, v5
	s_delay_alu instid0(VALU_DEP_1)
	v_add_nc_u32_e32 v5, v1, v5
	s_wait_kmcnt 0x0
	s_add_nc_u64 s[4:5], s[4:5], s[2:3]
	global_load_b96 v[2:4], v1, s[4:5]
	s_wait_xcnt 0x0
	s_movk_i32 s4, 0x64
.LBB2_1:                                ; =>This Inner Loop Header: Depth=1
	s_wait_loadcnt 0x0
	ds_store_2addr_b32 v1, v2, v3 offset1:1
	ds_store_b32 v1, v4 offset:8
	s_wait_dscnt 0x0
	s_barrier_signal -1
	s_barrier_wait -1
	ds_load_2addr_stride64_b32 v[2:3], v5 offset1:4
	ds_load_b32 v4, v5 offset:2048
	s_add_co_i32 s4, s4, -1
	s_wait_dscnt 0x0
	s_cmp_lg_u32 s4, 0
	s_barrier_signal -1
	s_barrier_wait -1
	s_cbranch_scc1 .LBB2_1
; %bb.2:
	s_load_b64 s[0:1], s[0:1], 0x10
	s_wait_kmcnt 0x0
	s_add_nc_u64 s[0:1], s[0:1], s[2:3]
	s_clause 0x2
	global_store_b32 v0, v2, s[0:1] scale_offset
	global_store_b32 v0, v3, s[0:1] offset:1024 scale_offset
	global_store_b32 v0, v4, s[0:1] offset:2048 scale_offset
	s_endpgm
	.section	.rodata,"a",@progbits
	.p2align	6, 0x0
	.amdhsa_kernel _Z6kernelI18blocked_to_stripediLj256ELj3ELj100EEvPKT0_PKjPS1_
		.amdhsa_group_segment_fixed_size 3072
		.amdhsa_private_segment_fixed_size 0
		.amdhsa_kernarg_size 24
		.amdhsa_user_sgpr_count 2
		.amdhsa_user_sgpr_dispatch_ptr 0
		.amdhsa_user_sgpr_queue_ptr 0
		.amdhsa_user_sgpr_kernarg_segment_ptr 1
		.amdhsa_user_sgpr_dispatch_id 0
		.amdhsa_user_sgpr_kernarg_preload_length 0
		.amdhsa_user_sgpr_kernarg_preload_offset 0
		.amdhsa_user_sgpr_private_segment_size 0
		.amdhsa_wavefront_size32 1
		.amdhsa_uses_dynamic_stack 0
		.amdhsa_enable_private_segment 0
		.amdhsa_system_sgpr_workgroup_id_x 1
		.amdhsa_system_sgpr_workgroup_id_y 0
		.amdhsa_system_sgpr_workgroup_id_z 0
		.amdhsa_system_sgpr_workgroup_info 0
		.amdhsa_system_vgpr_workitem_id 0
		.amdhsa_next_free_vgpr 6
		.amdhsa_next_free_sgpr 7
		.amdhsa_named_barrier_count 0
		.amdhsa_reserve_vcc 0
		.amdhsa_float_round_mode_32 0
		.amdhsa_float_round_mode_16_64 0
		.amdhsa_float_denorm_mode_32 3
		.amdhsa_float_denorm_mode_16_64 3
		.amdhsa_fp16_overflow 0
		.amdhsa_memory_ordered 1
		.amdhsa_forward_progress 1
		.amdhsa_inst_pref_size 2
		.amdhsa_round_robin_scheduling 0
		.amdhsa_exception_fp_ieee_invalid_op 0
		.amdhsa_exception_fp_denorm_src 0
		.amdhsa_exception_fp_ieee_div_zero 0
		.amdhsa_exception_fp_ieee_overflow 0
		.amdhsa_exception_fp_ieee_underflow 0
		.amdhsa_exception_fp_ieee_inexact 0
		.amdhsa_exception_int_div_zero 0
	.end_amdhsa_kernel
	.section	.text._Z6kernelI18blocked_to_stripediLj256ELj3ELj100EEvPKT0_PKjPS1_,"axG",@progbits,_Z6kernelI18blocked_to_stripediLj256ELj3ELj100EEvPKT0_PKjPS1_,comdat
.Lfunc_end2:
	.size	_Z6kernelI18blocked_to_stripediLj256ELj3ELj100EEvPKT0_PKjPS1_, .Lfunc_end2-_Z6kernelI18blocked_to_stripediLj256ELj3ELj100EEvPKT0_PKjPS1_
                                        ; -- End function
	.set _Z6kernelI18blocked_to_stripediLj256ELj3ELj100EEvPKT0_PKjPS1_.num_vgpr, 6
	.set _Z6kernelI18blocked_to_stripediLj256ELj3ELj100EEvPKT0_PKjPS1_.num_agpr, 0
	.set _Z6kernelI18blocked_to_stripediLj256ELj3ELj100EEvPKT0_PKjPS1_.numbered_sgpr, 7
	.set _Z6kernelI18blocked_to_stripediLj256ELj3ELj100EEvPKT0_PKjPS1_.num_named_barrier, 0
	.set _Z6kernelI18blocked_to_stripediLj256ELj3ELj100EEvPKT0_PKjPS1_.private_seg_size, 0
	.set _Z6kernelI18blocked_to_stripediLj256ELj3ELj100EEvPKT0_PKjPS1_.uses_vcc, 0
	.set _Z6kernelI18blocked_to_stripediLj256ELj3ELj100EEvPKT0_PKjPS1_.uses_flat_scratch, 0
	.set _Z6kernelI18blocked_to_stripediLj256ELj3ELj100EEvPKT0_PKjPS1_.has_dyn_sized_stack, 0
	.set _Z6kernelI18blocked_to_stripediLj256ELj3ELj100EEvPKT0_PKjPS1_.has_recursion, 0
	.set _Z6kernelI18blocked_to_stripediLj256ELj3ELj100EEvPKT0_PKjPS1_.has_indirect_call, 0
	.section	.AMDGPU.csdata,"",@progbits
; Kernel info:
; codeLenInByte = 240
; TotalNumSgprs: 7
; NumVgprs: 6
; ScratchSize: 0
; MemoryBound: 0
; FloatMode: 240
; IeeeMode: 1
; LDSByteSize: 3072 bytes/workgroup (compile time only)
; SGPRBlocks: 0
; VGPRBlocks: 0
; NumSGPRsForWavesPerEU: 7
; NumVGPRsForWavesPerEU: 6
; NamedBarCnt: 0
; Occupancy: 16
; WaveLimiterHint : 1
; COMPUTE_PGM_RSRC2:SCRATCH_EN: 0
; COMPUTE_PGM_RSRC2:USER_SGPR: 2
; COMPUTE_PGM_RSRC2:TRAP_HANDLER: 0
; COMPUTE_PGM_RSRC2:TGID_X_EN: 1
; COMPUTE_PGM_RSRC2:TGID_Y_EN: 0
; COMPUTE_PGM_RSRC2:TGID_Z_EN: 0
; COMPUTE_PGM_RSRC2:TIDIG_COMP_CNT: 0
	.section	.text._Z6kernelI18blocked_to_stripediLj256ELj4ELj100EEvPKT0_PKjPS1_,"axG",@progbits,_Z6kernelI18blocked_to_stripediLj256ELj4ELj100EEvPKT0_PKjPS1_,comdat
	.protected	_Z6kernelI18blocked_to_stripediLj256ELj4ELj100EEvPKT0_PKjPS1_ ; -- Begin function _Z6kernelI18blocked_to_stripediLj256ELj4ELj100EEvPKT0_PKjPS1_
	.globl	_Z6kernelI18blocked_to_stripediLj256ELj4ELj100EEvPKT0_PKjPS1_
	.p2align	8
	.type	_Z6kernelI18blocked_to_stripediLj256ELj4ELj100EEvPKT0_PKjPS1_,@function
_Z6kernelI18blocked_to_stripediLj256ELj4ELj100EEvPKT0_PKjPS1_: ; @_Z6kernelI18blocked_to_stripediLj256ELj4ELj100EEvPKT0_PKjPS1_
; %bb.0:
	s_load_b64 s[4:5], s[0:1], 0x0
	s_bfe_u32 s2, ttmp6, 0x4000c
	s_and_b32 s3, ttmp6, 15
	s_add_co_i32 s2, s2, 1
	s_getreg_b32 s6, hwreg(HW_REG_IB_STS2, 6, 4)
	s_mul_i32 s2, ttmp9, s2
	v_or_b32_e32 v1, 0x100, v0
	s_add_co_i32 s3, s3, s2
	s_cmp_eq_u32 s6, 0
	v_or_b32_e32 v6, 0x200, v0
	s_cselect_b32 s2, ttmp9, s3
	s_mov_b32 s3, 0
	s_lshl_b32 s2, s2, 10
	v_or_b32_e32 v7, 0x300, v0
	s_lshl_b64 s[2:3], s[2:3], 2
	v_dual_lshlrev_b32 v9, 2, v0 :: v_dual_lshrrev_b32 v8, 3, v0
	v_dual_lshrrev_b32 v1, 3, v1 :: v_dual_lshrrev_b32 v6, 3, v6
	s_delay_alu instid0(VALU_DEP_3) | instskip(SKIP_2) | instid1(VALU_DEP_2)
	v_dual_lshrrev_b32 v7, 3, v7 :: v_dual_lshlrev_b32 v10, 4, v0
	s_wait_kmcnt 0x0
	s_add_nc_u64 s[4:5], s[4:5], s[2:3]
	v_and_b32_e32 v12, 60, v1
	global_load_b128 v[2:5], v0, s[4:5] scale_offset
	v_and_b32_e32 v11, 28, v8
	v_and_b32_e32 v13, 0x5c, v6
	v_and_b32_e32 v14, 0x7c, v7
	v_lshl_add_u32 v1, v8, 2, v10
	s_delay_alu instid0(VALU_DEP_4) | instskip(NEXT) | instid1(VALU_DEP_3)
	v_dual_add_nc_u32 v7, v12, v9 :: v_dual_add_nc_u32 v6, v11, v9
	v_dual_add_nc_u32 v8, v13, v9 :: v_dual_add_nc_u32 v9, v14, v9
	s_wait_xcnt 0x0
	s_movk_i32 s4, 0x64
.LBB3_1:                                ; =>This Inner Loop Header: Depth=1
	s_wait_loadcnt 0x0
	ds_store_2addr_b32 v1, v2, v3 offset1:1
	ds_store_2addr_b32 v1, v4, v5 offset0:2 offset1:3
	s_wait_dscnt 0x0
	s_barrier_signal -1
	s_barrier_wait -1
	ds_load_b32 v2, v6
	ds_load_b32 v3, v7 offset:1024
	ds_load_b32 v4, v8 offset:2048
	;; [unrolled: 1-line block ×3, first 2 shown]
	s_add_co_i32 s4, s4, -1
	s_wait_dscnt 0x0
	s_cmp_lg_u32 s4, 0
	s_barrier_signal -1
	s_barrier_wait -1
	s_cbranch_scc1 .LBB3_1
; %bb.2:
	s_load_b64 s[0:1], s[0:1], 0x10
	s_wait_kmcnt 0x0
	s_add_nc_u64 s[0:1], s[0:1], s[2:3]
	s_clause 0x3
	global_store_b32 v0, v2, s[0:1] scale_offset
	global_store_b32 v0, v3, s[0:1] offset:1024 scale_offset
	global_store_b32 v0, v4, s[0:1] offset:2048 scale_offset
	;; [unrolled: 1-line block ×3, first 2 shown]
	s_endpgm
	.section	.rodata,"a",@progbits
	.p2align	6, 0x0
	.amdhsa_kernel _Z6kernelI18blocked_to_stripediLj256ELj4ELj100EEvPKT0_PKjPS1_
		.amdhsa_group_segment_fixed_size 4224
		.amdhsa_private_segment_fixed_size 0
		.amdhsa_kernarg_size 24
		.amdhsa_user_sgpr_count 2
		.amdhsa_user_sgpr_dispatch_ptr 0
		.amdhsa_user_sgpr_queue_ptr 0
		.amdhsa_user_sgpr_kernarg_segment_ptr 1
		.amdhsa_user_sgpr_dispatch_id 0
		.amdhsa_user_sgpr_kernarg_preload_length 0
		.amdhsa_user_sgpr_kernarg_preload_offset 0
		.amdhsa_user_sgpr_private_segment_size 0
		.amdhsa_wavefront_size32 1
		.amdhsa_uses_dynamic_stack 0
		.amdhsa_enable_private_segment 0
		.amdhsa_system_sgpr_workgroup_id_x 1
		.amdhsa_system_sgpr_workgroup_id_y 0
		.amdhsa_system_sgpr_workgroup_id_z 0
		.amdhsa_system_sgpr_workgroup_info 0
		.amdhsa_system_vgpr_workitem_id 0
		.amdhsa_next_free_vgpr 15
		.amdhsa_next_free_sgpr 7
		.amdhsa_named_barrier_count 0
		.amdhsa_reserve_vcc 0
		.amdhsa_float_round_mode_32 0
		.amdhsa_float_round_mode_16_64 0
		.amdhsa_float_denorm_mode_32 3
		.amdhsa_float_denorm_mode_16_64 3
		.amdhsa_fp16_overflow 0
		.amdhsa_memory_ordered 1
		.amdhsa_forward_progress 1
		.amdhsa_inst_pref_size 3
		.amdhsa_round_robin_scheduling 0
		.amdhsa_exception_fp_ieee_invalid_op 0
		.amdhsa_exception_fp_denorm_src 0
		.amdhsa_exception_fp_ieee_div_zero 0
		.amdhsa_exception_fp_ieee_overflow 0
		.amdhsa_exception_fp_ieee_underflow 0
		.amdhsa_exception_fp_ieee_inexact 0
		.amdhsa_exception_int_div_zero 0
	.end_amdhsa_kernel
	.section	.text._Z6kernelI18blocked_to_stripediLj256ELj4ELj100EEvPKT0_PKjPS1_,"axG",@progbits,_Z6kernelI18blocked_to_stripediLj256ELj4ELj100EEvPKT0_PKjPS1_,comdat
.Lfunc_end3:
	.size	_Z6kernelI18blocked_to_stripediLj256ELj4ELj100EEvPKT0_PKjPS1_, .Lfunc_end3-_Z6kernelI18blocked_to_stripediLj256ELj4ELj100EEvPKT0_PKjPS1_
                                        ; -- End function
	.set _Z6kernelI18blocked_to_stripediLj256ELj4ELj100EEvPKT0_PKjPS1_.num_vgpr, 15
	.set _Z6kernelI18blocked_to_stripediLj256ELj4ELj100EEvPKT0_PKjPS1_.num_agpr, 0
	.set _Z6kernelI18blocked_to_stripediLj256ELj4ELj100EEvPKT0_PKjPS1_.numbered_sgpr, 7
	.set _Z6kernelI18blocked_to_stripediLj256ELj4ELj100EEvPKT0_PKjPS1_.num_named_barrier, 0
	.set _Z6kernelI18blocked_to_stripediLj256ELj4ELj100EEvPKT0_PKjPS1_.private_seg_size, 0
	.set _Z6kernelI18blocked_to_stripediLj256ELj4ELj100EEvPKT0_PKjPS1_.uses_vcc, 0
	.set _Z6kernelI18blocked_to_stripediLj256ELj4ELj100EEvPKT0_PKjPS1_.uses_flat_scratch, 0
	.set _Z6kernelI18blocked_to_stripediLj256ELj4ELj100EEvPKT0_PKjPS1_.has_dyn_sized_stack, 0
	.set _Z6kernelI18blocked_to_stripediLj256ELj4ELj100EEvPKT0_PKjPS1_.has_recursion, 0
	.set _Z6kernelI18blocked_to_stripediLj256ELj4ELj100EEvPKT0_PKjPS1_.has_indirect_call, 0
	.section	.AMDGPU.csdata,"",@progbits
; Kernel info:
; codeLenInByte = 368
; TotalNumSgprs: 7
; NumVgprs: 15
; ScratchSize: 0
; MemoryBound: 0
; FloatMode: 240
; IeeeMode: 1
; LDSByteSize: 4224 bytes/workgroup (compile time only)
; SGPRBlocks: 0
; VGPRBlocks: 0
; NumSGPRsForWavesPerEU: 7
; NumVGPRsForWavesPerEU: 15
; NamedBarCnt: 0
; Occupancy: 16
; WaveLimiterHint : 1
; COMPUTE_PGM_RSRC2:SCRATCH_EN: 0
; COMPUTE_PGM_RSRC2:USER_SGPR: 2
; COMPUTE_PGM_RSRC2:TRAP_HANDLER: 0
; COMPUTE_PGM_RSRC2:TGID_X_EN: 1
; COMPUTE_PGM_RSRC2:TGID_Y_EN: 0
; COMPUTE_PGM_RSRC2:TGID_Z_EN: 0
; COMPUTE_PGM_RSRC2:TIDIG_COMP_CNT: 0
	.section	.text._Z6kernelI18blocked_to_stripediLj256ELj7ELj100EEvPKT0_PKjPS1_,"axG",@progbits,_Z6kernelI18blocked_to_stripediLj256ELj7ELj100EEvPKT0_PKjPS1_,comdat
	.protected	_Z6kernelI18blocked_to_stripediLj256ELj7ELj100EEvPKT0_PKjPS1_ ; -- Begin function _Z6kernelI18blocked_to_stripediLj256ELj7ELj100EEvPKT0_PKjPS1_
	.globl	_Z6kernelI18blocked_to_stripediLj256ELj7ELj100EEvPKT0_PKjPS1_
	.p2align	8
	.type	_Z6kernelI18blocked_to_stripediLj256ELj7ELj100EEvPKT0_PKjPS1_,@function
_Z6kernelI18blocked_to_stripediLj256ELj7ELj100EEvPKT0_PKjPS1_: ; @_Z6kernelI18blocked_to_stripediLj256ELj7ELj100EEvPKT0_PKjPS1_
; %bb.0:
	s_load_b64 s[4:5], s[0:1], 0x0
	s_bfe_u32 s2, ttmp6, 0x4000c
	s_and_b32 s3, ttmp6, 15
	s_add_co_i32 s2, s2, 1
	s_getreg_b32 s6, hwreg(HW_REG_IB_STS2, 6, 4)
	s_mul_i32 s2, ttmp9, s2
	v_mul_u32_u24_e32 v1, 7, v0
	s_add_co_i32 s3, s3, s2
	s_cmp_eq_u32 s6, 0
	v_mul_i32_i24_e32 v9, 0xffffffe8, v0
	s_cselect_b32 s2, ttmp9, s3
	s_mov_b32 s3, 0
	s_mulk_i32 s2, 0x700
	v_lshlrev_b32_e32 v1, 2, v1
	s_lshl_b64 s[2:3], s[2:3], 2
	s_delay_alu instid0(VALU_DEP_1)
	v_add_nc_u32_e32 v9, v1, v9
	s_wait_kmcnt 0x0
	s_add_nc_u64 s[4:5], s[4:5], s[2:3]
	s_clause 0x1
	global_load_b96 v[6:8], v1, s[4:5] offset:16
	global_load_b128 v[2:5], v1, s[4:5]
	s_wait_xcnt 0x0
	s_movk_i32 s4, 0x64
.LBB4_1:                                ; =>This Inner Loop Header: Depth=1
	s_wait_loadcnt 0x0
	ds_store_2addr_b32 v1, v2, v3 offset1:1
	ds_store_2addr_b32 v1, v4, v5 offset0:2 offset1:3
	ds_store_2addr_b32 v1, v6, v7 offset0:4 offset1:5
	ds_store_b32 v1, v8 offset:24
	s_wait_dscnt 0x0
	s_barrier_signal -1
	s_barrier_wait -1
	ds_load_2addr_stride64_b32 v[2:3], v9 offset1:4
	ds_load_2addr_stride64_b32 v[4:5], v9 offset0:8 offset1:12
	ds_load_2addr_stride64_b32 v[6:7], v9 offset0:16 offset1:20
	ds_load_b32 v8, v9 offset:6144
	s_add_co_i32 s4, s4, -1
	s_wait_dscnt 0x0
	s_cmp_lg_u32 s4, 0
	s_barrier_signal -1
	s_barrier_wait -1
	s_cbranch_scc1 .LBB4_1
; %bb.2:
	s_load_b64 s[0:1], s[0:1], 0x10
	s_wait_kmcnt 0x0
	s_add_nc_u64 s[0:1], s[0:1], s[2:3]
	s_clause 0x6
	global_store_b32 v0, v2, s[0:1] scale_offset
	global_store_b32 v0, v3, s[0:1] offset:1024 scale_offset
	global_store_b32 v0, v4, s[0:1] offset:2048 scale_offset
	;; [unrolled: 1-line block ×6, first 2 shown]
	s_endpgm
	.section	.rodata,"a",@progbits
	.p2align	6, 0x0
	.amdhsa_kernel _Z6kernelI18blocked_to_stripediLj256ELj7ELj100EEvPKT0_PKjPS1_
		.amdhsa_group_segment_fixed_size 7168
		.amdhsa_private_segment_fixed_size 0
		.amdhsa_kernarg_size 24
		.amdhsa_user_sgpr_count 2
		.amdhsa_user_sgpr_dispatch_ptr 0
		.amdhsa_user_sgpr_queue_ptr 0
		.amdhsa_user_sgpr_kernarg_segment_ptr 1
		.amdhsa_user_sgpr_dispatch_id 0
		.amdhsa_user_sgpr_kernarg_preload_length 0
		.amdhsa_user_sgpr_kernarg_preload_offset 0
		.amdhsa_user_sgpr_private_segment_size 0
		.amdhsa_wavefront_size32 1
		.amdhsa_uses_dynamic_stack 0
		.amdhsa_enable_private_segment 0
		.amdhsa_system_sgpr_workgroup_id_x 1
		.amdhsa_system_sgpr_workgroup_id_y 0
		.amdhsa_system_sgpr_workgroup_id_z 0
		.amdhsa_system_sgpr_workgroup_info 0
		.amdhsa_system_vgpr_workitem_id 0
		.amdhsa_next_free_vgpr 10
		.amdhsa_next_free_sgpr 7
		.amdhsa_named_barrier_count 0
		.amdhsa_reserve_vcc 0
		.amdhsa_float_round_mode_32 0
		.amdhsa_float_round_mode_16_64 0
		.amdhsa_float_denorm_mode_32 3
		.amdhsa_float_denorm_mode_16_64 3
		.amdhsa_fp16_overflow 0
		.amdhsa_memory_ordered 1
		.amdhsa_forward_progress 1
		.amdhsa_inst_pref_size 3
		.amdhsa_round_robin_scheduling 0
		.amdhsa_exception_fp_ieee_invalid_op 0
		.amdhsa_exception_fp_denorm_src 0
		.amdhsa_exception_fp_ieee_div_zero 0
		.amdhsa_exception_fp_ieee_overflow 0
		.amdhsa_exception_fp_ieee_underflow 0
		.amdhsa_exception_fp_ieee_inexact 0
		.amdhsa_exception_int_div_zero 0
	.end_amdhsa_kernel
	.section	.text._Z6kernelI18blocked_to_stripediLj256ELj7ELj100EEvPKT0_PKjPS1_,"axG",@progbits,_Z6kernelI18blocked_to_stripediLj256ELj7ELj100EEvPKT0_PKjPS1_,comdat
.Lfunc_end4:
	.size	_Z6kernelI18blocked_to_stripediLj256ELj7ELj100EEvPKT0_PKjPS1_, .Lfunc_end4-_Z6kernelI18blocked_to_stripediLj256ELj7ELj100EEvPKT0_PKjPS1_
                                        ; -- End function
	.set _Z6kernelI18blocked_to_stripediLj256ELj7ELj100EEvPKT0_PKjPS1_.num_vgpr, 10
	.set _Z6kernelI18blocked_to_stripediLj256ELj7ELj100EEvPKT0_PKjPS1_.num_agpr, 0
	.set _Z6kernelI18blocked_to_stripediLj256ELj7ELj100EEvPKT0_PKjPS1_.numbered_sgpr, 7
	.set _Z6kernelI18blocked_to_stripediLj256ELj7ELj100EEvPKT0_PKjPS1_.num_named_barrier, 0
	.set _Z6kernelI18blocked_to_stripediLj256ELj7ELj100EEvPKT0_PKjPS1_.private_seg_size, 0
	.set _Z6kernelI18blocked_to_stripediLj256ELj7ELj100EEvPKT0_PKjPS1_.uses_vcc, 0
	.set _Z6kernelI18blocked_to_stripediLj256ELj7ELj100EEvPKT0_PKjPS1_.uses_flat_scratch, 0
	.set _Z6kernelI18blocked_to_stripediLj256ELj7ELj100EEvPKT0_PKjPS1_.has_dyn_sized_stack, 0
	.set _Z6kernelI18blocked_to_stripediLj256ELj7ELj100EEvPKT0_PKjPS1_.has_recursion, 0
	.set _Z6kernelI18blocked_to_stripediLj256ELj7ELj100EEvPKT0_PKjPS1_.has_indirect_call, 0
	.section	.AMDGPU.csdata,"",@progbits
; Kernel info:
; codeLenInByte = 336
; TotalNumSgprs: 7
; NumVgprs: 10
; ScratchSize: 0
; MemoryBound: 0
; FloatMode: 240
; IeeeMode: 1
; LDSByteSize: 7168 bytes/workgroup (compile time only)
; SGPRBlocks: 0
; VGPRBlocks: 0
; NumSGPRsForWavesPerEU: 7
; NumVGPRsForWavesPerEU: 10
; NamedBarCnt: 0
; Occupancy: 16
; WaveLimiterHint : 1
; COMPUTE_PGM_RSRC2:SCRATCH_EN: 0
; COMPUTE_PGM_RSRC2:USER_SGPR: 2
; COMPUTE_PGM_RSRC2:TRAP_HANDLER: 0
; COMPUTE_PGM_RSRC2:TGID_X_EN: 1
; COMPUTE_PGM_RSRC2:TGID_Y_EN: 0
; COMPUTE_PGM_RSRC2:TGID_Z_EN: 0
; COMPUTE_PGM_RSRC2:TIDIG_COMP_CNT: 0
	.section	.text._Z6kernelI18blocked_to_stripediLj256ELj8ELj100EEvPKT0_PKjPS1_,"axG",@progbits,_Z6kernelI18blocked_to_stripediLj256ELj8ELj100EEvPKT0_PKjPS1_,comdat
	.protected	_Z6kernelI18blocked_to_stripediLj256ELj8ELj100EEvPKT0_PKjPS1_ ; -- Begin function _Z6kernelI18blocked_to_stripediLj256ELj8ELj100EEvPKT0_PKjPS1_
	.globl	_Z6kernelI18blocked_to_stripediLj256ELj8ELj100EEvPKT0_PKjPS1_
	.p2align	8
	.type	_Z6kernelI18blocked_to_stripediLj256ELj8ELj100EEvPKT0_PKjPS1_,@function
_Z6kernelI18blocked_to_stripediLj256ELj8ELj100EEvPKT0_PKjPS1_: ; @_Z6kernelI18blocked_to_stripediLj256ELj8ELj100EEvPKT0_PKjPS1_
; %bb.0:
	s_load_b64 s[4:5], s[0:1], 0x0
	s_bfe_u32 s2, ttmp6, 0x4000c
	s_and_b32 s3, ttmp6, 15
	s_add_co_i32 s2, s2, 1
	s_getreg_b32 s6, hwreg(HW_REG_IB_STS2, 6, 4)
	s_mul_i32 s2, ttmp9, s2
	v_dual_lshlrev_b32 v1, 5, v0 :: v_dual_lshrrev_b32 v12, 3, v0
	s_add_co_i32 s3, s3, s2
	s_cmp_eq_u32 s6, 0
	v_or_b32_e32 v10, 0x100, v0
	s_cselect_b32 s2, ttmp9, s3
	s_mov_b32 s3, 0
	s_lshl_b32 s2, s2, 11
	v_or_b32_e32 v11, 0x200, v0
	s_lshl_b64 s[2:3], s[2:3], 2
	v_lshrrev_b32_e32 v10, 3, v10
	v_and_b32_e32 v13, 0xfc, v0
	s_delay_alu instid0(VALU_DEP_3)
	v_dual_lshrrev_b32 v11, 3, v11 :: v_dual_bitop2_b32 v12, 28, v12 bitop3:0x40
	s_wait_kmcnt 0x0
	s_add_nc_u64 s[4:5], s[4:5], s[2:3]
	v_dual_lshlrev_b32 v17, 2, v0 :: v_dual_bitop2_b32 v14, 60, v10 bitop3:0x40
	s_clause 0x1
	global_load_b128 v[2:5], v1, s[4:5]
	global_load_b128 v[6:9], v1, s[4:5] offset:16
	v_and_b32_e32 v15, 0x5c, v11
	s_wait_xcnt 0x0
	v_add_nc_u32_e32 v1, v13, v1
	v_dual_add_nc_u32 v10, v12, v17 :: v_dual_add_nc_u32 v11, v14, v17
	v_or_b32_e32 v13, 0x300, v0
	v_or_b32_e32 v14, 0x400, v0
	v_add_nc_u32_e32 v12, v15, v17
	v_or_b32_e32 v15, 0x500, v0
	v_or_b32_e32 v16, 0x600, v0
	v_or_b32_e32 v18, 0x700, v0
	v_dual_lshrrev_b32 v13, 3, v13 :: v_dual_lshrrev_b32 v14, 3, v14
	s_delay_alu instid0(VALU_DEP_3) | instskip(NEXT) | instid1(VALU_DEP_3)
	v_dual_lshrrev_b32 v15, 3, v15 :: v_dual_lshrrev_b32 v16, 3, v16
	v_lshrrev_b32_e32 v18, 3, v18
	s_delay_alu instid0(VALU_DEP_3) | instskip(NEXT) | instid1(VALU_DEP_4)
	v_and_b32_e32 v13, 0x7c, v13
	v_and_b32_e32 v14, 0x9c, v14
	s_delay_alu instid0(VALU_DEP_4) | instskip(SKIP_2) | instid1(VALU_DEP_4)
	v_and_b32_e32 v15, 0xbc, v15
	v_and_b32_e32 v16, 0xdc, v16
	;; [unrolled: 1-line block ×3, first 2 shown]
	v_dual_add_nc_u32 v13, v13, v17 :: v_dual_add_nc_u32 v14, v14, v17
	s_delay_alu instid0(VALU_DEP_3) | instskip(NEXT) | instid1(VALU_DEP_3)
	v_dual_add_nc_u32 v15, v15, v17 :: v_dual_add_nc_u32 v16, v16, v17
	v_add_nc_u32_e32 v17, v18, v17
	s_movk_i32 s4, 0x64
.LBB5_1:                                ; =>This Inner Loop Header: Depth=1
	s_wait_loadcnt 0x1
	ds_store_2addr_b32 v1, v2, v3 offset1:1
	ds_store_2addr_b32 v1, v4, v5 offset0:2 offset1:3
	s_wait_loadcnt 0x0
	ds_store_2addr_b32 v1, v6, v7 offset0:4 offset1:5
	ds_store_2addr_b32 v1, v8, v9 offset0:6 offset1:7
	s_wait_dscnt 0x0
	s_barrier_signal -1
	s_barrier_wait -1
	ds_load_b32 v2, v10
	ds_load_b32 v3, v11 offset:1024
	ds_load_b32 v4, v12 offset:2048
	ds_load_b32 v5, v13 offset:3072
	ds_load_b32 v6, v14 offset:4096
	ds_load_b32 v7, v15 offset:5120
	ds_load_b32 v8, v16 offset:6144
	ds_load_b32 v9, v17 offset:7168
	s_add_co_i32 s4, s4, -1
	s_wait_dscnt 0x0
	s_cmp_lg_u32 s4, 0
	s_barrier_signal -1
	s_barrier_wait -1
	s_cbranch_scc1 .LBB5_1
; %bb.2:
	s_load_b64 s[0:1], s[0:1], 0x10
	s_wait_kmcnt 0x0
	s_add_nc_u64 s[0:1], s[0:1], s[2:3]
	s_clause 0x7
	global_store_b32 v0, v2, s[0:1] scale_offset
	global_store_b32 v0, v3, s[0:1] offset:1024 scale_offset
	global_store_b32 v0, v4, s[0:1] offset:2048 scale_offset
	;; [unrolled: 1-line block ×7, first 2 shown]
	s_endpgm
	.section	.rodata,"a",@progbits
	.p2align	6, 0x0
	.amdhsa_kernel _Z6kernelI18blocked_to_stripediLj256ELj8ELj100EEvPKT0_PKjPS1_
		.amdhsa_group_segment_fixed_size 8448
		.amdhsa_private_segment_fixed_size 0
		.amdhsa_kernarg_size 24
		.amdhsa_user_sgpr_count 2
		.amdhsa_user_sgpr_dispatch_ptr 0
		.amdhsa_user_sgpr_queue_ptr 0
		.amdhsa_user_sgpr_kernarg_segment_ptr 1
		.amdhsa_user_sgpr_dispatch_id 0
		.amdhsa_user_sgpr_kernarg_preload_length 0
		.amdhsa_user_sgpr_kernarg_preload_offset 0
		.amdhsa_user_sgpr_private_segment_size 0
		.amdhsa_wavefront_size32 1
		.amdhsa_uses_dynamic_stack 0
		.amdhsa_enable_private_segment 0
		.amdhsa_system_sgpr_workgroup_id_x 1
		.amdhsa_system_sgpr_workgroup_id_y 0
		.amdhsa_system_sgpr_workgroup_id_z 0
		.amdhsa_system_sgpr_workgroup_info 0
		.amdhsa_system_vgpr_workitem_id 0
		.amdhsa_next_free_vgpr 19
		.amdhsa_next_free_sgpr 7
		.amdhsa_named_barrier_count 0
		.amdhsa_reserve_vcc 0
		.amdhsa_float_round_mode_32 0
		.amdhsa_float_round_mode_16_64 0
		.amdhsa_float_denorm_mode_32 3
		.amdhsa_float_denorm_mode_16_64 3
		.amdhsa_fp16_overflow 0
		.amdhsa_memory_ordered 1
		.amdhsa_forward_progress 1
		.amdhsa_inst_pref_size 5
		.amdhsa_round_robin_scheduling 0
		.amdhsa_exception_fp_ieee_invalid_op 0
		.amdhsa_exception_fp_denorm_src 0
		.amdhsa_exception_fp_ieee_div_zero 0
		.amdhsa_exception_fp_ieee_overflow 0
		.amdhsa_exception_fp_ieee_underflow 0
		.amdhsa_exception_fp_ieee_inexact 0
		.amdhsa_exception_int_div_zero 0
	.end_amdhsa_kernel
	.section	.text._Z6kernelI18blocked_to_stripediLj256ELj8ELj100EEvPKT0_PKjPS1_,"axG",@progbits,_Z6kernelI18blocked_to_stripediLj256ELj8ELj100EEvPKT0_PKjPS1_,comdat
.Lfunc_end5:
	.size	_Z6kernelI18blocked_to_stripediLj256ELj8ELj100EEvPKT0_PKjPS1_, .Lfunc_end5-_Z6kernelI18blocked_to_stripediLj256ELj8ELj100EEvPKT0_PKjPS1_
                                        ; -- End function
	.set _Z6kernelI18blocked_to_stripediLj256ELj8ELj100EEvPKT0_PKjPS1_.num_vgpr, 19
	.set _Z6kernelI18blocked_to_stripediLj256ELj8ELj100EEvPKT0_PKjPS1_.num_agpr, 0
	.set _Z6kernelI18blocked_to_stripediLj256ELj8ELj100EEvPKT0_PKjPS1_.numbered_sgpr, 7
	.set _Z6kernelI18blocked_to_stripediLj256ELj8ELj100EEvPKT0_PKjPS1_.num_named_barrier, 0
	.set _Z6kernelI18blocked_to_stripediLj256ELj8ELj100EEvPKT0_PKjPS1_.private_seg_size, 0
	.set _Z6kernelI18blocked_to_stripediLj256ELj8ELj100EEvPKT0_PKjPS1_.uses_vcc, 0
	.set _Z6kernelI18blocked_to_stripediLj256ELj8ELj100EEvPKT0_PKjPS1_.uses_flat_scratch, 0
	.set _Z6kernelI18blocked_to_stripediLj256ELj8ELj100EEvPKT0_PKjPS1_.has_dyn_sized_stack, 0
	.set _Z6kernelI18blocked_to_stripediLj256ELj8ELj100EEvPKT0_PKjPS1_.has_recursion, 0
	.set _Z6kernelI18blocked_to_stripediLj256ELj8ELj100EEvPKT0_PKjPS1_.has_indirect_call, 0
	.section	.AMDGPU.csdata,"",@progbits
; Kernel info:
; codeLenInByte = 608
; TotalNumSgprs: 7
; NumVgprs: 19
; ScratchSize: 0
; MemoryBound: 0
; FloatMode: 240
; IeeeMode: 1
; LDSByteSize: 8448 bytes/workgroup (compile time only)
; SGPRBlocks: 0
; VGPRBlocks: 1
; NumSGPRsForWavesPerEU: 7
; NumVGPRsForWavesPerEU: 19
; NamedBarCnt: 0
; Occupancy: 16
; WaveLimiterHint : 1
; COMPUTE_PGM_RSRC2:SCRATCH_EN: 0
; COMPUTE_PGM_RSRC2:USER_SGPR: 2
; COMPUTE_PGM_RSRC2:TRAP_HANDLER: 0
; COMPUTE_PGM_RSRC2:TGID_X_EN: 1
; COMPUTE_PGM_RSRC2:TGID_Y_EN: 0
; COMPUTE_PGM_RSRC2:TGID_Z_EN: 0
; COMPUTE_PGM_RSRC2:TIDIG_COMP_CNT: 0
	.section	.text._Z6kernelI18blocked_to_stripedaLj256ELj1ELj100EEvPKT0_PKjPS1_,"axG",@progbits,_Z6kernelI18blocked_to_stripedaLj256ELj1ELj100EEvPKT0_PKjPS1_,comdat
	.protected	_Z6kernelI18blocked_to_stripedaLj256ELj1ELj100EEvPKT0_PKjPS1_ ; -- Begin function _Z6kernelI18blocked_to_stripedaLj256ELj1ELj100EEvPKT0_PKjPS1_
	.globl	_Z6kernelI18blocked_to_stripedaLj256ELj1ELj100EEvPKT0_PKjPS1_
	.p2align	8
	.type	_Z6kernelI18blocked_to_stripedaLj256ELj1ELj100EEvPKT0_PKjPS1_,@function
_Z6kernelI18blocked_to_stripedaLj256ELj1ELj100EEvPKT0_PKjPS1_: ; @_Z6kernelI18blocked_to_stripedaLj256ELj1ELj100EEvPKT0_PKjPS1_
; %bb.0:
	s_load_b64 s[4:5], s[0:1], 0x0
	s_bfe_u32 s2, ttmp6, 0x4000c
	s_and_b32 s3, ttmp6, 15
	s_add_co_i32 s2, s2, 1
	s_getreg_b32 s6, hwreg(HW_REG_IB_STS2, 6, 4)
	s_mul_i32 s2, ttmp9, s2
	v_mov_b32_e32 v1, 0
	s_add_co_i32 s3, s3, s2
	s_cmp_eq_u32 s6, 0
	s_cselect_b32 s2, ttmp9, s3
	s_mov_b32 s3, 0
	s_lshl_b32 s2, s2, 8
	s_wait_kmcnt 0x0
	s_add_nc_u64 s[4:5], s[4:5], s[2:3]
	global_load_u8 v2, v0, s[4:5]
	s_wait_xcnt 0x0
	s_movk_i32 s4, 0x64
.LBB6_1:                                ; =>This Inner Loop Header: Depth=1
	s_wait_loadcnt 0x0
	ds_store_b8 v0, v2
	s_wait_dscnt 0x0
	s_barrier_signal -1
	s_barrier_wait -1
	ds_load_u8 v2, v0
	s_add_co_i32 s4, s4, -1
	s_wait_dscnt 0x0
	s_cmp_lg_u32 s4, 0
	s_barrier_signal -1
	s_barrier_wait -1
	s_cbranch_scc1 .LBB6_1
; %bb.2:
	s_load_b64 s[0:1], s[0:1], 0x10
	s_wait_kmcnt 0x0
	s_add_nc_u64 s[0:1], s[0:1], s[2:3]
	s_delay_alu instid0(SALU_CYCLE_1)
	v_add_nc_u64_e32 v[0:1], s[0:1], v[0:1]
	global_store_b8 v[0:1], v2, off
	s_endpgm
	.section	.rodata,"a",@progbits
	.p2align	6, 0x0
	.amdhsa_kernel _Z6kernelI18blocked_to_stripedaLj256ELj1ELj100EEvPKT0_PKjPS1_
		.amdhsa_group_segment_fixed_size 256
		.amdhsa_private_segment_fixed_size 0
		.amdhsa_kernarg_size 24
		.amdhsa_user_sgpr_count 2
		.amdhsa_user_sgpr_dispatch_ptr 0
		.amdhsa_user_sgpr_queue_ptr 0
		.amdhsa_user_sgpr_kernarg_segment_ptr 1
		.amdhsa_user_sgpr_dispatch_id 0
		.amdhsa_user_sgpr_kernarg_preload_length 0
		.amdhsa_user_sgpr_kernarg_preload_offset 0
		.amdhsa_user_sgpr_private_segment_size 0
		.amdhsa_wavefront_size32 1
		.amdhsa_uses_dynamic_stack 0
		.amdhsa_enable_private_segment 0
		.amdhsa_system_sgpr_workgroup_id_x 1
		.amdhsa_system_sgpr_workgroup_id_y 0
		.amdhsa_system_sgpr_workgroup_id_z 0
		.amdhsa_system_sgpr_workgroup_info 0
		.amdhsa_system_vgpr_workitem_id 0
		.amdhsa_next_free_vgpr 3
		.amdhsa_next_free_sgpr 7
		.amdhsa_named_barrier_count 0
		.amdhsa_reserve_vcc 0
		.amdhsa_float_round_mode_32 0
		.amdhsa_float_round_mode_16_64 0
		.amdhsa_float_denorm_mode_32 3
		.amdhsa_float_denorm_mode_16_64 3
		.amdhsa_fp16_overflow 0
		.amdhsa_memory_ordered 1
		.amdhsa_forward_progress 1
		.amdhsa_inst_pref_size 2
		.amdhsa_round_robin_scheduling 0
		.amdhsa_exception_fp_ieee_invalid_op 0
		.amdhsa_exception_fp_denorm_src 0
		.amdhsa_exception_fp_ieee_div_zero 0
		.amdhsa_exception_fp_ieee_overflow 0
		.amdhsa_exception_fp_ieee_underflow 0
		.amdhsa_exception_fp_ieee_inexact 0
		.amdhsa_exception_int_div_zero 0
	.end_amdhsa_kernel
	.section	.text._Z6kernelI18blocked_to_stripedaLj256ELj1ELj100EEvPKT0_PKjPS1_,"axG",@progbits,_Z6kernelI18blocked_to_stripedaLj256ELj1ELj100EEvPKT0_PKjPS1_,comdat
.Lfunc_end6:
	.size	_Z6kernelI18blocked_to_stripedaLj256ELj1ELj100EEvPKT0_PKjPS1_, .Lfunc_end6-_Z6kernelI18blocked_to_stripedaLj256ELj1ELj100EEvPKT0_PKjPS1_
                                        ; -- End function
	.set _Z6kernelI18blocked_to_stripedaLj256ELj1ELj100EEvPKT0_PKjPS1_.num_vgpr, 3
	.set _Z6kernelI18blocked_to_stripedaLj256ELj1ELj100EEvPKT0_PKjPS1_.num_agpr, 0
	.set _Z6kernelI18blocked_to_stripedaLj256ELj1ELj100EEvPKT0_PKjPS1_.numbered_sgpr, 7
	.set _Z6kernelI18blocked_to_stripedaLj256ELj1ELj100EEvPKT0_PKjPS1_.num_named_barrier, 0
	.set _Z6kernelI18blocked_to_stripedaLj256ELj1ELj100EEvPKT0_PKjPS1_.private_seg_size, 0
	.set _Z6kernelI18blocked_to_stripedaLj256ELj1ELj100EEvPKT0_PKjPS1_.uses_vcc, 0
	.set _Z6kernelI18blocked_to_stripedaLj256ELj1ELj100EEvPKT0_PKjPS1_.uses_flat_scratch, 0
	.set _Z6kernelI18blocked_to_stripedaLj256ELj1ELj100EEvPKT0_PKjPS1_.has_dyn_sized_stack, 0
	.set _Z6kernelI18blocked_to_stripedaLj256ELj1ELj100EEvPKT0_PKjPS1_.has_recursion, 0
	.set _Z6kernelI18blocked_to_stripedaLj256ELj1ELj100EEvPKT0_PKjPS1_.has_indirect_call, 0
	.section	.AMDGPU.csdata,"",@progbits
; Kernel info:
; codeLenInByte = 180
; TotalNumSgprs: 7
; NumVgprs: 3
; ScratchSize: 0
; MemoryBound: 0
; FloatMode: 240
; IeeeMode: 1
; LDSByteSize: 256 bytes/workgroup (compile time only)
; SGPRBlocks: 0
; VGPRBlocks: 0
; NumSGPRsForWavesPerEU: 7
; NumVGPRsForWavesPerEU: 3
; NamedBarCnt: 0
; Occupancy: 16
; WaveLimiterHint : 0
; COMPUTE_PGM_RSRC2:SCRATCH_EN: 0
; COMPUTE_PGM_RSRC2:USER_SGPR: 2
; COMPUTE_PGM_RSRC2:TRAP_HANDLER: 0
; COMPUTE_PGM_RSRC2:TGID_X_EN: 1
; COMPUTE_PGM_RSRC2:TGID_Y_EN: 0
; COMPUTE_PGM_RSRC2:TGID_Z_EN: 0
; COMPUTE_PGM_RSRC2:TIDIG_COMP_CNT: 0
	.section	.text._Z6kernelI18blocked_to_stripedaLj256ELj2ELj100EEvPKT0_PKjPS1_,"axG",@progbits,_Z6kernelI18blocked_to_stripedaLj256ELj2ELj100EEvPKT0_PKjPS1_,comdat
	.protected	_Z6kernelI18blocked_to_stripedaLj256ELj2ELj100EEvPKT0_PKjPS1_ ; -- Begin function _Z6kernelI18blocked_to_stripedaLj256ELj2ELj100EEvPKT0_PKjPS1_
	.globl	_Z6kernelI18blocked_to_stripedaLj256ELj2ELj100EEvPKT0_PKjPS1_
	.p2align	8
	.type	_Z6kernelI18blocked_to_stripedaLj256ELj2ELj100EEvPKT0_PKjPS1_,@function
_Z6kernelI18blocked_to_stripedaLj256ELj2ELj100EEvPKT0_PKjPS1_: ; @_Z6kernelI18blocked_to_stripedaLj256ELj2ELj100EEvPKT0_PKjPS1_
; %bb.0:
	s_load_b64 s[4:5], s[0:1], 0x0
	s_bfe_u32 s2, ttmp6, 0x4000c
	s_and_b32 s3, ttmp6, 15
	s_add_co_i32 s2, s2, 1
	s_getreg_b32 s6, hwreg(HW_REG_IB_STS2, 6, 4)
	s_mul_i32 s2, ttmp9, s2
	v_or_b32_e32 v2, 0x100, v0
	s_add_co_i32 s3, s3, s2
	s_cmp_eq_u32 s6, 0
	v_dual_lshrrev_b32 v3, 4, v0 :: v_dual_lshrrev_b32 v4, 5, v0
	s_cselect_b32 s2, ttmp9, s3
	s_mov_b32 s3, 0
	s_lshl_b32 s2, s2, 9
	v_dual_lshrrev_b32 v2, 5, v2 :: v_dual_lshlrev_b32 v5, 1, v0
	s_delay_alu instid0(VALU_DEP_1)
	v_and_b32_e32 v6, 12, v2
	s_wait_kmcnt 0x0
	s_add_nc_u64 s[4:5], s[4:5], s[2:3]
	v_and_b32_e32 v3, 12, v3
	global_load_u16 v1, v0, s[4:5] scale_offset
	v_and_b32_e32 v4, 4, v4
	s_wait_xcnt 0x0
	s_movk_i32 s4, 0x64
	s_delay_alu instid0(VALU_DEP_1)
	v_dual_add_nc_u32 v2, v3, v5 :: v_dual_add_nc_u32 v3, v4, v0
	v_add_nc_u32_e32 v4, v6, v0
.LBB7_1:                                ; =>This Inner Loop Header: Depth=1
	s_wait_loadcnt 0x0
	ds_store_b16 v2, v1
	s_wait_dscnt 0x0
	s_barrier_signal -1
	s_barrier_wait -1
	ds_load_u8 v5, v3
	ds_load_u8 v6, v4 offset:256
	s_add_co_i32 s4, s4, -1
	s_wait_dscnt 0x0
	s_cmp_lg_u32 s4, 0
	s_barrier_signal -1
	s_barrier_wait -1
	v_perm_b32 v1, v5, v6, 0xc0c0004
	s_cbranch_scc1 .LBB7_1
; %bb.2:
	s_load_b64 s[0:1], s[0:1], 0x10
	s_wait_kmcnt 0x0
	s_add_nc_u64 s[0:1], s[0:1], s[2:3]
	s_clause 0x1
	global_store_b8 v0, v5, s[0:1]
	global_store_b8 v0, v6, s[0:1] offset:256
	s_endpgm
	.section	.rodata,"a",@progbits
	.p2align	6, 0x0
	.amdhsa_kernel _Z6kernelI18blocked_to_stripedaLj256ELj2ELj100EEvPKT0_PKjPS1_
		.amdhsa_group_segment_fixed_size 528
		.amdhsa_private_segment_fixed_size 0
		.amdhsa_kernarg_size 24
		.amdhsa_user_sgpr_count 2
		.amdhsa_user_sgpr_dispatch_ptr 0
		.amdhsa_user_sgpr_queue_ptr 0
		.amdhsa_user_sgpr_kernarg_segment_ptr 1
		.amdhsa_user_sgpr_dispatch_id 0
		.amdhsa_user_sgpr_kernarg_preload_length 0
		.amdhsa_user_sgpr_kernarg_preload_offset 0
		.amdhsa_user_sgpr_private_segment_size 0
		.amdhsa_wavefront_size32 1
		.amdhsa_uses_dynamic_stack 0
		.amdhsa_enable_private_segment 0
		.amdhsa_system_sgpr_workgroup_id_x 1
		.amdhsa_system_sgpr_workgroup_id_y 0
		.amdhsa_system_sgpr_workgroup_id_z 0
		.amdhsa_system_sgpr_workgroup_info 0
		.amdhsa_system_vgpr_workitem_id 0
		.amdhsa_next_free_vgpr 7
		.amdhsa_next_free_sgpr 7
		.amdhsa_named_barrier_count 0
		.amdhsa_reserve_vcc 0
		.amdhsa_float_round_mode_32 0
		.amdhsa_float_round_mode_16_64 0
		.amdhsa_float_denorm_mode_32 3
		.amdhsa_float_denorm_mode_16_64 3
		.amdhsa_fp16_overflow 0
		.amdhsa_memory_ordered 1
		.amdhsa_forward_progress 1
		.amdhsa_inst_pref_size 3
		.amdhsa_round_robin_scheduling 0
		.amdhsa_exception_fp_ieee_invalid_op 0
		.amdhsa_exception_fp_denorm_src 0
		.amdhsa_exception_fp_ieee_div_zero 0
		.amdhsa_exception_fp_ieee_overflow 0
		.amdhsa_exception_fp_ieee_underflow 0
		.amdhsa_exception_fp_ieee_inexact 0
		.amdhsa_exception_int_div_zero 0
	.end_amdhsa_kernel
	.section	.text._Z6kernelI18blocked_to_stripedaLj256ELj2ELj100EEvPKT0_PKjPS1_,"axG",@progbits,_Z6kernelI18blocked_to_stripedaLj256ELj2ELj100EEvPKT0_PKjPS1_,comdat
.Lfunc_end7:
	.size	_Z6kernelI18blocked_to_stripedaLj256ELj2ELj100EEvPKT0_PKjPS1_, .Lfunc_end7-_Z6kernelI18blocked_to_stripedaLj256ELj2ELj100EEvPKT0_PKjPS1_
                                        ; -- End function
	.set _Z6kernelI18blocked_to_stripedaLj256ELj2ELj100EEvPKT0_PKjPS1_.num_vgpr, 7
	.set _Z6kernelI18blocked_to_stripedaLj256ELj2ELj100EEvPKT0_PKjPS1_.num_agpr, 0
	.set _Z6kernelI18blocked_to_stripedaLj256ELj2ELj100EEvPKT0_PKjPS1_.numbered_sgpr, 7
	.set _Z6kernelI18blocked_to_stripedaLj256ELj2ELj100EEvPKT0_PKjPS1_.num_named_barrier, 0
	.set _Z6kernelI18blocked_to_stripedaLj256ELj2ELj100EEvPKT0_PKjPS1_.private_seg_size, 0
	.set _Z6kernelI18blocked_to_stripedaLj256ELj2ELj100EEvPKT0_PKjPS1_.uses_vcc, 0
	.set _Z6kernelI18blocked_to_stripedaLj256ELj2ELj100EEvPKT0_PKjPS1_.uses_flat_scratch, 0
	.set _Z6kernelI18blocked_to_stripedaLj256ELj2ELj100EEvPKT0_PKjPS1_.has_dyn_sized_stack, 0
	.set _Z6kernelI18blocked_to_stripedaLj256ELj2ELj100EEvPKT0_PKjPS1_.has_recursion, 0
	.set _Z6kernelI18blocked_to_stripedaLj256ELj2ELj100EEvPKT0_PKjPS1_.has_indirect_call, 0
	.section	.AMDGPU.csdata,"",@progbits
; Kernel info:
; codeLenInByte = 272
; TotalNumSgprs: 7
; NumVgprs: 7
; ScratchSize: 0
; MemoryBound: 0
; FloatMode: 240
; IeeeMode: 1
; LDSByteSize: 528 bytes/workgroup (compile time only)
; SGPRBlocks: 0
; VGPRBlocks: 0
; NumSGPRsForWavesPerEU: 7
; NumVGPRsForWavesPerEU: 7
; NamedBarCnt: 0
; Occupancy: 16
; WaveLimiterHint : 1
; COMPUTE_PGM_RSRC2:SCRATCH_EN: 0
; COMPUTE_PGM_RSRC2:USER_SGPR: 2
; COMPUTE_PGM_RSRC2:TRAP_HANDLER: 0
; COMPUTE_PGM_RSRC2:TGID_X_EN: 1
; COMPUTE_PGM_RSRC2:TGID_Y_EN: 0
; COMPUTE_PGM_RSRC2:TGID_Z_EN: 0
; COMPUTE_PGM_RSRC2:TIDIG_COMP_CNT: 0
	.section	.text._Z6kernelI18blocked_to_stripedaLj256ELj3ELj100EEvPKT0_PKjPS1_,"axG",@progbits,_Z6kernelI18blocked_to_stripedaLj256ELj3ELj100EEvPKT0_PKjPS1_,comdat
	.protected	_Z6kernelI18blocked_to_stripedaLj256ELj3ELj100EEvPKT0_PKjPS1_ ; -- Begin function _Z6kernelI18blocked_to_stripedaLj256ELj3ELj100EEvPKT0_PKjPS1_
	.globl	_Z6kernelI18blocked_to_stripedaLj256ELj3ELj100EEvPKT0_PKjPS1_
	.p2align	8
	.type	_Z6kernelI18blocked_to_stripedaLj256ELj3ELj100EEvPKT0_PKjPS1_,@function
_Z6kernelI18blocked_to_stripedaLj256ELj3ELj100EEvPKT0_PKjPS1_: ; @_Z6kernelI18blocked_to_stripedaLj256ELj3ELj100EEvPKT0_PKjPS1_
; %bb.0:
	s_load_b64 s[4:5], s[0:1], 0x0
	s_bfe_u32 s2, ttmp6, 0x4000c
	s_and_b32 s3, ttmp6, 15
	s_add_co_i32 s2, s2, 1
	s_getreg_b32 s6, hwreg(HW_REG_IB_STS2, 6, 4)
	s_mul_i32 s2, ttmp9, s2
	v_mul_u32_u24_e32 v1, 3, v0
	s_add_co_i32 s2, s3, s2
	s_cmp_eq_u32 s6, 0
	s_mov_b32 s3, 0
	s_cselect_b32 s2, ttmp9, s2
	s_delay_alu instid0(SALU_CYCLE_1)
	s_mulk_i32 s2, 0x300
	s_wait_kmcnt 0x0
	s_add_nc_u64 s[4:5], s[4:5], s[2:3]
	s_clause 0x1
	global_load_u16 v2, v1, s[4:5]
	global_load_u8 v3, v1, s[4:5] offset:2
	s_wait_xcnt 0x0
	s_movk_i32 s4, 0x64
	s_wait_loadcnt 0x1
	v_lshrrev_b32_e32 v4, 8, v2
	s_delay_alu instid0(VALU_DEP_1) | instskip(NEXT) | instid1(VALU_DEP_1)
	v_lshlrev_b16 v4, 8, v4
	v_bitop3_b16 v2, v2, v4, 0xff bitop3:0xec
	s_delay_alu instid0(VALU_DEP_1) | instskip(SKIP_1) | instid1(VALU_DEP_1)
	v_and_b32_e32 v2, 0xffff, v2
	s_wait_loadcnt 0x0
	v_lshl_or_b32 v2, v3, 16, v2
.LBB8_1:                                ; =>This Inner Loop Header: Depth=1
	s_delay_alu instid0(VALU_DEP_1)
	v_lshrrev_b32_e32 v3, 8, v2
	s_add_co_i32 s4, s4, -1
	ds_store_b8 v1, v2
	ds_store_b8 v1, v3 offset:1
	ds_store_b8_d16_hi v1, v2 offset:2
	s_wait_dscnt 0x0
	s_barrier_signal -1
	s_barrier_wait -1
	ds_load_u8 v3, v0
	ds_load_u8 v4, v0 offset:256
	ds_load_u8 v5, v0 offset:512
	s_cmp_lg_u32 s4, 0
	s_wait_dscnt 0x0
	s_barrier_signal -1
	s_barrier_wait -1
	v_perm_b32 v2, v3, v4, 0xc0c0004
	v_lshlrev_b32_e32 v6, 16, v5
	s_delay_alu instid0(VALU_DEP_1)
	v_or_b32_e32 v2, v2, v6
	s_cbranch_scc1 .LBB8_1
; %bb.2:
	s_load_b64 s[0:1], s[0:1], 0x10
	s_wait_kmcnt 0x0
	s_add_nc_u64 s[0:1], s[0:1], s[2:3]
	s_clause 0x2
	global_store_b8 v0, v3, s[0:1]
	global_store_b8 v0, v4, s[0:1] offset:256
	global_store_b8 v0, v5, s[0:1] offset:512
	s_endpgm
	.section	.rodata,"a",@progbits
	.p2align	6, 0x0
	.amdhsa_kernel _Z6kernelI18blocked_to_stripedaLj256ELj3ELj100EEvPKT0_PKjPS1_
		.amdhsa_group_segment_fixed_size 768
		.amdhsa_private_segment_fixed_size 0
		.amdhsa_kernarg_size 24
		.amdhsa_user_sgpr_count 2
		.amdhsa_user_sgpr_dispatch_ptr 0
		.amdhsa_user_sgpr_queue_ptr 0
		.amdhsa_user_sgpr_kernarg_segment_ptr 1
		.amdhsa_user_sgpr_dispatch_id 0
		.amdhsa_user_sgpr_kernarg_preload_length 0
		.amdhsa_user_sgpr_kernarg_preload_offset 0
		.amdhsa_user_sgpr_private_segment_size 0
		.amdhsa_wavefront_size32 1
		.amdhsa_uses_dynamic_stack 0
		.amdhsa_enable_private_segment 0
		.amdhsa_system_sgpr_workgroup_id_x 1
		.amdhsa_system_sgpr_workgroup_id_y 0
		.amdhsa_system_sgpr_workgroup_id_z 0
		.amdhsa_system_sgpr_workgroup_info 0
		.amdhsa_system_vgpr_workitem_id 0
		.amdhsa_next_free_vgpr 7
		.amdhsa_next_free_sgpr 7
		.amdhsa_named_barrier_count 0
		.amdhsa_reserve_vcc 0
		.amdhsa_float_round_mode_32 0
		.amdhsa_float_round_mode_16_64 0
		.amdhsa_float_denorm_mode_32 3
		.amdhsa_float_denorm_mode_16_64 3
		.amdhsa_fp16_overflow 0
		.amdhsa_memory_ordered 1
		.amdhsa_forward_progress 1
		.amdhsa_inst_pref_size 3
		.amdhsa_round_robin_scheduling 0
		.amdhsa_exception_fp_ieee_invalid_op 0
		.amdhsa_exception_fp_denorm_src 0
		.amdhsa_exception_fp_ieee_div_zero 0
		.amdhsa_exception_fp_ieee_overflow 0
		.amdhsa_exception_fp_ieee_underflow 0
		.amdhsa_exception_fp_ieee_inexact 0
		.amdhsa_exception_int_div_zero 0
	.end_amdhsa_kernel
	.section	.text._Z6kernelI18blocked_to_stripedaLj256ELj3ELj100EEvPKT0_PKjPS1_,"axG",@progbits,_Z6kernelI18blocked_to_stripedaLj256ELj3ELj100EEvPKT0_PKjPS1_,comdat
.Lfunc_end8:
	.size	_Z6kernelI18blocked_to_stripedaLj256ELj3ELj100EEvPKT0_PKjPS1_, .Lfunc_end8-_Z6kernelI18blocked_to_stripedaLj256ELj3ELj100EEvPKT0_PKjPS1_
                                        ; -- End function
	.set _Z6kernelI18blocked_to_stripedaLj256ELj3ELj100EEvPKT0_PKjPS1_.num_vgpr, 7
	.set _Z6kernelI18blocked_to_stripedaLj256ELj3ELj100EEvPKT0_PKjPS1_.num_agpr, 0
	.set _Z6kernelI18blocked_to_stripedaLj256ELj3ELj100EEvPKT0_PKjPS1_.numbered_sgpr, 7
	.set _Z6kernelI18blocked_to_stripedaLj256ELj3ELj100EEvPKT0_PKjPS1_.num_named_barrier, 0
	.set _Z6kernelI18blocked_to_stripedaLj256ELj3ELj100EEvPKT0_PKjPS1_.private_seg_size, 0
	.set _Z6kernelI18blocked_to_stripedaLj256ELj3ELj100EEvPKT0_PKjPS1_.uses_vcc, 0
	.set _Z6kernelI18blocked_to_stripedaLj256ELj3ELj100EEvPKT0_PKjPS1_.uses_flat_scratch, 0
	.set _Z6kernelI18blocked_to_stripedaLj256ELj3ELj100EEvPKT0_PKjPS1_.has_dyn_sized_stack, 0
	.set _Z6kernelI18blocked_to_stripedaLj256ELj3ELj100EEvPKT0_PKjPS1_.has_recursion, 0
	.set _Z6kernelI18blocked_to_stripedaLj256ELj3ELj100EEvPKT0_PKjPS1_.has_indirect_call, 0
	.section	.AMDGPU.csdata,"",@progbits
; Kernel info:
; codeLenInByte = 336
; TotalNumSgprs: 7
; NumVgprs: 7
; ScratchSize: 0
; MemoryBound: 0
; FloatMode: 240
; IeeeMode: 1
; LDSByteSize: 768 bytes/workgroup (compile time only)
; SGPRBlocks: 0
; VGPRBlocks: 0
; NumSGPRsForWavesPerEU: 7
; NumVGPRsForWavesPerEU: 7
; NamedBarCnt: 0
; Occupancy: 16
; WaveLimiterHint : 1
; COMPUTE_PGM_RSRC2:SCRATCH_EN: 0
; COMPUTE_PGM_RSRC2:USER_SGPR: 2
; COMPUTE_PGM_RSRC2:TRAP_HANDLER: 0
; COMPUTE_PGM_RSRC2:TGID_X_EN: 1
; COMPUTE_PGM_RSRC2:TGID_Y_EN: 0
; COMPUTE_PGM_RSRC2:TGID_Z_EN: 0
; COMPUTE_PGM_RSRC2:TIDIG_COMP_CNT: 0
	.section	.text._Z6kernelI18blocked_to_stripedaLj256ELj4ELj100EEvPKT0_PKjPS1_,"axG",@progbits,_Z6kernelI18blocked_to_stripedaLj256ELj4ELj100EEvPKT0_PKjPS1_,comdat
	.protected	_Z6kernelI18blocked_to_stripedaLj256ELj4ELj100EEvPKT0_PKjPS1_ ; -- Begin function _Z6kernelI18blocked_to_stripedaLj256ELj4ELj100EEvPKT0_PKjPS1_
	.globl	_Z6kernelI18blocked_to_stripedaLj256ELj4ELj100EEvPKT0_PKjPS1_
	.p2align	8
	.type	_Z6kernelI18blocked_to_stripedaLj256ELj4ELj100EEvPKT0_PKjPS1_,@function
_Z6kernelI18blocked_to_stripedaLj256ELj4ELj100EEvPKT0_PKjPS1_: ; @_Z6kernelI18blocked_to_stripedaLj256ELj4ELj100EEvPKT0_PKjPS1_
; %bb.0:
	s_load_b64 s[4:5], s[0:1], 0x0
	s_bfe_u32 s2, ttmp6, 0x4000c
	s_and_b32 s3, ttmp6, 15
	s_add_co_i32 s2, s2, 1
	s_getreg_b32 s6, hwreg(HW_REG_IB_STS2, 6, 4)
	s_mul_i32 s2, ttmp9, s2
	v_or_b32_e32 v3, 0x100, v0
	s_add_co_i32 s3, s3, s2
	s_cmp_eq_u32 s6, 0
	v_or_b32_e32 v4, 0x200, v0
	s_cselect_b32 s2, ttmp9, s3
	s_mov_b32 s3, 0
	s_lshl_b32 s2, s2, 10
	v_or_b32_e32 v5, 0x300, v0
	v_dual_lshlrev_b32 v2, 2, v0 :: v_dual_lshrrev_b32 v6, 3, v0
	v_dual_lshrrev_b32 v7, 5, v0 :: v_dual_lshrrev_b32 v3, 5, v3
	s_delay_alu instid0(VALU_DEP_3) | instskip(SKIP_2) | instid1(VALU_DEP_2)
	v_dual_lshrrev_b32 v4, 5, v4 :: v_dual_lshrrev_b32 v5, 5, v5
	s_wait_kmcnt 0x0
	s_add_nc_u64 s[4:5], s[4:5], s[2:3]
	v_and_b32_e32 v7, 4, v7
	global_load_b32 v1, v0, s[4:5] scale_offset
	v_and_b32_e32 v6, 28, v6
	v_and_b32_e32 v9, 20, v4
	;; [unrolled: 1-line block ×3, first 2 shown]
	v_dual_add_nc_u32 v3, v7, v0 :: v_dual_bitop2_b32 v10, 28, v5 bitop3:0x40
	s_delay_alu instid0(VALU_DEP_3) | instskip(NEXT) | instid1(VALU_DEP_2)
	v_dual_add_nc_u32 v2, v6, v2 :: v_dual_add_nc_u32 v5, v9, v0
	v_dual_add_nc_u32 v4, v8, v0 :: v_dual_add_nc_u32 v6, v10, v0
	s_wait_xcnt 0x0
	s_movk_i32 s4, 0x64
.LBB9_1:                                ; =>This Inner Loop Header: Depth=1
	s_wait_loadcnt 0x0
	ds_store_b32 v2, v1
	s_wait_dscnt 0x0
	s_barrier_signal -1
	s_barrier_wait -1
	ds_load_u8 v7, v3
	ds_load_u8 v8, v4 offset:256
	ds_load_u8 v9, v5 offset:512
	;; [unrolled: 1-line block ×3, first 2 shown]
	s_add_co_i32 s4, s4, -1
	s_wait_dscnt 0x0
	s_cmp_lg_u32 s4, 0
	s_barrier_signal -1
	s_barrier_wait -1
	v_perm_b32 v1, v7, v8, 0xc0c0004
	v_perm_b32 v11, v9, v10, 0xc0c0004
	s_delay_alu instid0(VALU_DEP_1)
	v_lshl_or_b32 v1, v11, 16, v1
	s_cbranch_scc1 .LBB9_1
; %bb.2:
	s_load_b64 s[0:1], s[0:1], 0x10
	s_wait_kmcnt 0x0
	s_add_nc_u64 s[0:1], s[0:1], s[2:3]
	s_clause 0x3
	global_store_b8 v0, v7, s[0:1]
	global_store_b8 v0, v8, s[0:1] offset:256
	global_store_b8 v0, v9, s[0:1] offset:512
	;; [unrolled: 1-line block ×3, first 2 shown]
	s_endpgm
	.section	.rodata,"a",@progbits
	.p2align	6, 0x0
	.amdhsa_kernel _Z6kernelI18blocked_to_stripedaLj256ELj4ELj100EEvPKT0_PKjPS1_
		.amdhsa_group_segment_fixed_size 1056
		.amdhsa_private_segment_fixed_size 0
		.amdhsa_kernarg_size 24
		.amdhsa_user_sgpr_count 2
		.amdhsa_user_sgpr_dispatch_ptr 0
		.amdhsa_user_sgpr_queue_ptr 0
		.amdhsa_user_sgpr_kernarg_segment_ptr 1
		.amdhsa_user_sgpr_dispatch_id 0
		.amdhsa_user_sgpr_kernarg_preload_length 0
		.amdhsa_user_sgpr_kernarg_preload_offset 0
		.amdhsa_user_sgpr_private_segment_size 0
		.amdhsa_wavefront_size32 1
		.amdhsa_uses_dynamic_stack 0
		.amdhsa_enable_private_segment 0
		.amdhsa_system_sgpr_workgroup_id_x 1
		.amdhsa_system_sgpr_workgroup_id_y 0
		.amdhsa_system_sgpr_workgroup_id_z 0
		.amdhsa_system_sgpr_workgroup_info 0
		.amdhsa_system_vgpr_workitem_id 0
		.amdhsa_next_free_vgpr 12
		.amdhsa_next_free_sgpr 7
		.amdhsa_named_barrier_count 0
		.amdhsa_reserve_vcc 0
		.amdhsa_float_round_mode_32 0
		.amdhsa_float_round_mode_16_64 0
		.amdhsa_float_denorm_mode_32 3
		.amdhsa_float_denorm_mode_16_64 3
		.amdhsa_fp16_overflow 0
		.amdhsa_memory_ordered 1
		.amdhsa_forward_progress 1
		.amdhsa_inst_pref_size 4
		.amdhsa_round_robin_scheduling 0
		.amdhsa_exception_fp_ieee_invalid_op 0
		.amdhsa_exception_fp_denorm_src 0
		.amdhsa_exception_fp_ieee_div_zero 0
		.amdhsa_exception_fp_ieee_overflow 0
		.amdhsa_exception_fp_ieee_underflow 0
		.amdhsa_exception_fp_ieee_inexact 0
		.amdhsa_exception_int_div_zero 0
	.end_amdhsa_kernel
	.section	.text._Z6kernelI18blocked_to_stripedaLj256ELj4ELj100EEvPKT0_PKjPS1_,"axG",@progbits,_Z6kernelI18blocked_to_stripedaLj256ELj4ELj100EEvPKT0_PKjPS1_,comdat
.Lfunc_end9:
	.size	_Z6kernelI18blocked_to_stripedaLj256ELj4ELj100EEvPKT0_PKjPS1_, .Lfunc_end9-_Z6kernelI18blocked_to_stripedaLj256ELj4ELj100EEvPKT0_PKjPS1_
                                        ; -- End function
	.set _Z6kernelI18blocked_to_stripedaLj256ELj4ELj100EEvPKT0_PKjPS1_.num_vgpr, 12
	.set _Z6kernelI18blocked_to_stripedaLj256ELj4ELj100EEvPKT0_PKjPS1_.num_agpr, 0
	.set _Z6kernelI18blocked_to_stripedaLj256ELj4ELj100EEvPKT0_PKjPS1_.numbered_sgpr, 7
	.set _Z6kernelI18blocked_to_stripedaLj256ELj4ELj100EEvPKT0_PKjPS1_.num_named_barrier, 0
	.set _Z6kernelI18blocked_to_stripedaLj256ELj4ELj100EEvPKT0_PKjPS1_.private_seg_size, 0
	.set _Z6kernelI18blocked_to_stripedaLj256ELj4ELj100EEvPKT0_PKjPS1_.uses_vcc, 0
	.set _Z6kernelI18blocked_to_stripedaLj256ELj4ELj100EEvPKT0_PKjPS1_.uses_flat_scratch, 0
	.set _Z6kernelI18blocked_to_stripedaLj256ELj4ELj100EEvPKT0_PKjPS1_.has_dyn_sized_stack, 0
	.set _Z6kernelI18blocked_to_stripedaLj256ELj4ELj100EEvPKT0_PKjPS1_.has_recursion, 0
	.set _Z6kernelI18blocked_to_stripedaLj256ELj4ELj100EEvPKT0_PKjPS1_.has_indirect_call, 0
	.section	.AMDGPU.csdata,"",@progbits
; Kernel info:
; codeLenInByte = 388
; TotalNumSgprs: 7
; NumVgprs: 12
; ScratchSize: 0
; MemoryBound: 0
; FloatMode: 240
; IeeeMode: 1
; LDSByteSize: 1056 bytes/workgroup (compile time only)
; SGPRBlocks: 0
; VGPRBlocks: 0
; NumSGPRsForWavesPerEU: 7
; NumVGPRsForWavesPerEU: 12
; NamedBarCnt: 0
; Occupancy: 16
; WaveLimiterHint : 1
; COMPUTE_PGM_RSRC2:SCRATCH_EN: 0
; COMPUTE_PGM_RSRC2:USER_SGPR: 2
; COMPUTE_PGM_RSRC2:TRAP_HANDLER: 0
; COMPUTE_PGM_RSRC2:TGID_X_EN: 1
; COMPUTE_PGM_RSRC2:TGID_Y_EN: 0
; COMPUTE_PGM_RSRC2:TGID_Z_EN: 0
; COMPUTE_PGM_RSRC2:TIDIG_COMP_CNT: 0
	.section	.text._Z6kernelI18blocked_to_stripedaLj256ELj7ELj100EEvPKT0_PKjPS1_,"axG",@progbits,_Z6kernelI18blocked_to_stripedaLj256ELj7ELj100EEvPKT0_PKjPS1_,comdat
	.protected	_Z6kernelI18blocked_to_stripedaLj256ELj7ELj100EEvPKT0_PKjPS1_ ; -- Begin function _Z6kernelI18blocked_to_stripedaLj256ELj7ELj100EEvPKT0_PKjPS1_
	.globl	_Z6kernelI18blocked_to_stripedaLj256ELj7ELj100EEvPKT0_PKjPS1_
	.p2align	8
	.type	_Z6kernelI18blocked_to_stripedaLj256ELj7ELj100EEvPKT0_PKjPS1_,@function
_Z6kernelI18blocked_to_stripedaLj256ELj7ELj100EEvPKT0_PKjPS1_: ; @_Z6kernelI18blocked_to_stripedaLj256ELj7ELj100EEvPKT0_PKjPS1_
; %bb.0:
	s_load_b64 s[4:5], s[0:1], 0x0
	s_bfe_u32 s2, ttmp6, 0x4000c
	s_and_b32 s3, ttmp6, 15
	s_add_co_i32 s2, s2, 1
	s_getreg_b32 s6, hwreg(HW_REG_IB_STS2, 6, 4)
	s_mul_i32 s2, ttmp9, s2
	v_mul_u32_u24_e32 v1, 7, v0
	s_add_co_i32 s2, s3, s2
	s_cmp_eq_u32 s6, 0
	s_mov_b32 s3, 0
	s_cselect_b32 s2, ttmp9, s2
	s_delay_alu instid0(SALU_CYCLE_1)
	s_mulk_i32 s2, 0x700
	s_wait_kmcnt 0x0
	s_add_nc_u64 s[4:5], s[4:5], s[2:3]
	s_clause 0x2
	global_load_b32 v4, v1, s[4:5]
	global_load_u16 v3, v1, s[4:5] offset:4
	global_load_i8 v2, v1, s[4:5] offset:6
	s_wait_xcnt 0x0
	s_movk_i32 s4, 0x64
	s_wait_loadcnt 0x2
	v_dual_lshrrev_b32 v5, 24, v4 :: v_dual_lshrrev_b32 v6, 16, v4
	v_perm_b32 v7, v4, v4, 0x3020104
	s_delay_alu instid0(VALU_DEP_2) | instskip(NEXT) | instid1(VALU_DEP_2)
	v_lshlrev_b16 v5, 8, v5
	v_perm_b32 v4, v4, v7, 0xc0c0104
	s_delay_alu instid0(VALU_DEP_2) | instskip(NEXT) | instid1(VALU_DEP_1)
	v_lshrrev_b32_e32 v5, 8, v5
	v_lshlrev_b16 v5, 8, v5
	s_delay_alu instid0(VALU_DEP_1) | instskip(SKIP_2) | instid1(VALU_DEP_2)
	v_bitop3_b16 v5, v6, v5, 0xff bitop3:0xec
	s_wait_loadcnt 0x1
	v_and_b32_e32 v6, 0xffff, v3
	v_lshlrev_b32_e32 v5, 16, v5
	s_delay_alu instid0(VALU_DEP_1)
	v_dual_lshrrev_b32 v4, 8, v6 :: v_dual_bitop2_b32 v9, v4, v5 bitop3:0x54
.LBB10_1:                               ; =>This Inner Loop Header: Depth=1
	ds_store_b32 v1, v9
	ds_store_b8 v1, v3 offset:4
	ds_store_b8 v1, v4 offset:5
	s_wait_loadcnt 0x0
	ds_store_b8 v1, v2 offset:6
	s_wait_dscnt 0x0
	s_barrier_signal -1
	s_barrier_wait -1
	ds_load_u8 v5, v0
	ds_load_u8 v6, v0 offset:256
	ds_load_u8 v7, v0 offset:512
	;; [unrolled: 1-line block ×6, first 2 shown]
	s_add_co_i32 s4, s4, -1
	s_wait_dscnt 0x0
	s_cmp_lg_u32 s4, 0
	s_barrier_signal -1
	s_barrier_wait -1
	v_perm_b32 v9, v5, v6, 0xc0c0004
	v_perm_b32 v10, v7, v8, 0xc0c0004
	s_delay_alu instid0(VALU_DEP_1)
	v_lshl_or_b32 v9, v10, 16, v9
	s_cbranch_scc1 .LBB10_1
; %bb.2:
	s_load_b64 s[0:1], s[0:1], 0x10
	s_wait_kmcnt 0x0
	s_add_nc_u64 s[0:1], s[0:1], s[2:3]
	s_clause 0x6
	global_store_b8 v0, v5, s[0:1]
	global_store_b8 v0, v6, s[0:1] offset:256
	global_store_b8 v0, v7, s[0:1] offset:512
	;; [unrolled: 1-line block ×6, first 2 shown]
	s_endpgm
	.section	.rodata,"a",@progbits
	.p2align	6, 0x0
	.amdhsa_kernel _Z6kernelI18blocked_to_stripedaLj256ELj7ELj100EEvPKT0_PKjPS1_
		.amdhsa_group_segment_fixed_size 1792
		.amdhsa_private_segment_fixed_size 0
		.amdhsa_kernarg_size 24
		.amdhsa_user_sgpr_count 2
		.amdhsa_user_sgpr_dispatch_ptr 0
		.amdhsa_user_sgpr_queue_ptr 0
		.amdhsa_user_sgpr_kernarg_segment_ptr 1
		.amdhsa_user_sgpr_dispatch_id 0
		.amdhsa_user_sgpr_kernarg_preload_length 0
		.amdhsa_user_sgpr_kernarg_preload_offset 0
		.amdhsa_user_sgpr_private_segment_size 0
		.amdhsa_wavefront_size32 1
		.amdhsa_uses_dynamic_stack 0
		.amdhsa_enable_private_segment 0
		.amdhsa_system_sgpr_workgroup_id_x 1
		.amdhsa_system_sgpr_workgroup_id_y 0
		.amdhsa_system_sgpr_workgroup_id_z 0
		.amdhsa_system_sgpr_workgroup_info 0
		.amdhsa_system_vgpr_workitem_id 0
		.amdhsa_next_free_vgpr 11
		.amdhsa_next_free_sgpr 7
		.amdhsa_named_barrier_count 0
		.amdhsa_reserve_vcc 0
		.amdhsa_float_round_mode_32 0
		.amdhsa_float_round_mode_16_64 0
		.amdhsa_float_denorm_mode_32 3
		.amdhsa_float_denorm_mode_16_64 3
		.amdhsa_fp16_overflow 0
		.amdhsa_memory_ordered 1
		.amdhsa_forward_progress 1
		.amdhsa_inst_pref_size 4
		.amdhsa_round_robin_scheduling 0
		.amdhsa_exception_fp_ieee_invalid_op 0
		.amdhsa_exception_fp_denorm_src 0
		.amdhsa_exception_fp_ieee_div_zero 0
		.amdhsa_exception_fp_ieee_overflow 0
		.amdhsa_exception_fp_ieee_underflow 0
		.amdhsa_exception_fp_ieee_inexact 0
		.amdhsa_exception_int_div_zero 0
	.end_amdhsa_kernel
	.section	.text._Z6kernelI18blocked_to_stripedaLj256ELj7ELj100EEvPKT0_PKjPS1_,"axG",@progbits,_Z6kernelI18blocked_to_stripedaLj256ELj7ELj100EEvPKT0_PKjPS1_,comdat
.Lfunc_end10:
	.size	_Z6kernelI18blocked_to_stripedaLj256ELj7ELj100EEvPKT0_PKjPS1_, .Lfunc_end10-_Z6kernelI18blocked_to_stripedaLj256ELj7ELj100EEvPKT0_PKjPS1_
                                        ; -- End function
	.set _Z6kernelI18blocked_to_stripedaLj256ELj7ELj100EEvPKT0_PKjPS1_.num_vgpr, 11
	.set _Z6kernelI18blocked_to_stripedaLj256ELj7ELj100EEvPKT0_PKjPS1_.num_agpr, 0
	.set _Z6kernelI18blocked_to_stripedaLj256ELj7ELj100EEvPKT0_PKjPS1_.numbered_sgpr, 7
	.set _Z6kernelI18blocked_to_stripedaLj256ELj7ELj100EEvPKT0_PKjPS1_.num_named_barrier, 0
	.set _Z6kernelI18blocked_to_stripedaLj256ELj7ELj100EEvPKT0_PKjPS1_.private_seg_size, 0
	.set _Z6kernelI18blocked_to_stripedaLj256ELj7ELj100EEvPKT0_PKjPS1_.uses_vcc, 0
	.set _Z6kernelI18blocked_to_stripedaLj256ELj7ELj100EEvPKT0_PKjPS1_.uses_flat_scratch, 0
	.set _Z6kernelI18blocked_to_stripedaLj256ELj7ELj100EEvPKT0_PKjPS1_.has_dyn_sized_stack, 0
	.set _Z6kernelI18blocked_to_stripedaLj256ELj7ELj100EEvPKT0_PKjPS1_.has_recursion, 0
	.set _Z6kernelI18blocked_to_stripedaLj256ELj7ELj100EEvPKT0_PKjPS1_.has_indirect_call, 0
	.section	.AMDGPU.csdata,"",@progbits
; Kernel info:
; codeLenInByte = 504
; TotalNumSgprs: 7
; NumVgprs: 11
; ScratchSize: 0
; MemoryBound: 0
; FloatMode: 240
; IeeeMode: 1
; LDSByteSize: 1792 bytes/workgroup (compile time only)
; SGPRBlocks: 0
; VGPRBlocks: 0
; NumSGPRsForWavesPerEU: 7
; NumVGPRsForWavesPerEU: 11
; NamedBarCnt: 0
; Occupancy: 16
; WaveLimiterHint : 1
; COMPUTE_PGM_RSRC2:SCRATCH_EN: 0
; COMPUTE_PGM_RSRC2:USER_SGPR: 2
; COMPUTE_PGM_RSRC2:TRAP_HANDLER: 0
; COMPUTE_PGM_RSRC2:TGID_X_EN: 1
; COMPUTE_PGM_RSRC2:TGID_Y_EN: 0
; COMPUTE_PGM_RSRC2:TGID_Z_EN: 0
; COMPUTE_PGM_RSRC2:TIDIG_COMP_CNT: 0
	.section	.text._Z6kernelI18blocked_to_stripedaLj256ELj8ELj100EEvPKT0_PKjPS1_,"axG",@progbits,_Z6kernelI18blocked_to_stripedaLj256ELj8ELj100EEvPKT0_PKjPS1_,comdat
	.protected	_Z6kernelI18blocked_to_stripedaLj256ELj8ELj100EEvPKT0_PKjPS1_ ; -- Begin function _Z6kernelI18blocked_to_stripedaLj256ELj8ELj100EEvPKT0_PKjPS1_
	.globl	_Z6kernelI18blocked_to_stripedaLj256ELj8ELj100EEvPKT0_PKjPS1_
	.p2align	8
	.type	_Z6kernelI18blocked_to_stripedaLj256ELj8ELj100EEvPKT0_PKjPS1_,@function
_Z6kernelI18blocked_to_stripedaLj256ELj8ELj100EEvPKT0_PKjPS1_: ; @_Z6kernelI18blocked_to_stripedaLj256ELj8ELj100EEvPKT0_PKjPS1_
; %bb.0:
	s_load_b64 s[4:5], s[0:1], 0x0
	s_bfe_u32 s2, ttmp6, 0x4000c
	s_and_b32 s3, ttmp6, 15
	s_add_co_i32 s2, s2, 1
	s_getreg_b32 s6, hwreg(HW_REG_IB_STS2, 6, 4)
	s_mul_i32 s2, ttmp9, s2
	v_or_b32_e32 v1, 0x100, v0
	s_add_co_i32 s3, s3, s2
	s_cmp_eq_u32 s6, 0
	v_or_b32_e32 v4, 0x200, v0
	s_cselect_b32 s2, ttmp9, s3
	s_mov_b32 s3, 0
	s_lshl_b32 s2, s2, 11
	s_delay_alu instid0(VALU_DEP_1) | instskip(SKIP_3) | instid1(VALU_DEP_4)
	v_dual_lshrrev_b32 v1, 5, v1 :: v_dual_lshrrev_b32 v4, 5, v4
	v_dual_lshrrev_b32 v5, 2, v0 :: v_dual_lshrrev_b32 v6, 5, v0
	v_or_b32_e32 v10, 0x500, v0
	v_or_b32_e32 v11, 0x600, v0
	v_and_b32_e32 v9, 20, v4
	s_wait_kmcnt 0x0
	s_add_nc_u64 s[4:5], s[4:5], s[2:3]
	v_or_b32_e32 v4, 0x400, v0
	global_load_b64 v[2:3], v0, s[4:5] scale_offset
	v_and_b32_e32 v8, 12, v1
	v_or_b32_e32 v1, 0x300, v0
	v_or_b32_e32 v12, 0x700, v0
	v_dual_lshrrev_b32 v4, 5, v4 :: v_dual_bitop2_b32 v6, 4, v6 bitop3:0x40
	s_delay_alu instid0(VALU_DEP_3) | instskip(NEXT) | instid1(VALU_DEP_3)
	v_dual_lshrrev_b32 v10, 5, v10 :: v_dual_lshrrev_b32 v1, 5, v1
	v_dual_lshrrev_b32 v11, 5, v11 :: v_dual_lshrrev_b32 v12, 5, v12
	v_dual_lshlrev_b32 v7, 3, v0 :: v_dual_bitop2_b32 v5, 60, v5 bitop3:0x40
	s_delay_alu instid0(VALU_DEP_3)
	v_and_b32_e32 v13, 28, v1
	v_and_b32_e32 v14, 36, v4
	v_dual_add_nc_u32 v4, v6, v0 :: v_dual_bitop2_b32 v10, 44, v10 bitop3:0x40
	v_and_b32_e32 v11, 52, v11
	v_dual_add_nc_u32 v1, v5, v7 :: v_dual_bitop2_b32 v12, 60, v12 bitop3:0x40
	v_dual_add_nc_u32 v5, v8, v0 :: v_dual_add_nc_u32 v6, v9, v0
	v_dual_add_nc_u32 v8, v14, v0 :: v_dual_add_nc_u32 v7, v13, v0
	s_delay_alu instid0(VALU_DEP_4) | instskip(NEXT) | instid1(VALU_DEP_4)
	v_dual_add_nc_u32 v9, v10, v0 :: v_dual_add_nc_u32 v10, v11, v0
	v_add_nc_u32_e32 v11, v12, v0
	s_wait_xcnt 0x0
	s_movk_i32 s4, 0x64
.LBB11_1:                               ; =>This Inner Loop Header: Depth=1
	s_wait_loadcnt 0x0
	ds_store_2addr_b32 v1, v2, v3 offset1:1
	s_wait_dscnt 0x0
	s_barrier_signal -1
	s_barrier_wait -1
	ds_load_u8 v12, v4
	ds_load_u8 v13, v5 offset:256
	ds_load_u8 v14, v6 offset:512
	;; [unrolled: 1-line block ×7, first 2 shown]
	s_add_co_i32 s4, s4, -1
	s_wait_dscnt 0x0
	s_cmp_lg_u32 s4, 0
	s_barrier_signal -1
	s_barrier_wait -1
	v_perm_b32 v2, v12, v13, 0xc0c0004
	v_perm_b32 v3, v14, v15, 0xc0c0004
	;; [unrolled: 1-line block ×4, first 2 shown]
	s_delay_alu instid0(VALU_DEP_3) | instskip(NEXT) | instid1(VALU_DEP_2)
	v_lshl_or_b32 v2, v3, 16, v2
	v_lshl_or_b32 v3, v21, 16, v20
	s_cbranch_scc1 .LBB11_1
; %bb.2:
	s_load_b64 s[0:1], s[0:1], 0x10
	s_wait_kmcnt 0x0
	s_add_nc_u64 s[0:1], s[0:1], s[2:3]
	s_clause 0x7
	global_store_b8 v0, v12, s[0:1]
	global_store_b8 v0, v13, s[0:1] offset:256
	global_store_b8 v0, v14, s[0:1] offset:512
	;; [unrolled: 1-line block ×7, first 2 shown]
	s_endpgm
	.section	.rodata,"a",@progbits
	.p2align	6, 0x0
	.amdhsa_kernel _Z6kernelI18blocked_to_stripedaLj256ELj8ELj100EEvPKT0_PKjPS1_
		.amdhsa_group_segment_fixed_size 2112
		.amdhsa_private_segment_fixed_size 0
		.amdhsa_kernarg_size 24
		.amdhsa_user_sgpr_count 2
		.amdhsa_user_sgpr_dispatch_ptr 0
		.amdhsa_user_sgpr_queue_ptr 0
		.amdhsa_user_sgpr_kernarg_segment_ptr 1
		.amdhsa_user_sgpr_dispatch_id 0
		.amdhsa_user_sgpr_kernarg_preload_length 0
		.amdhsa_user_sgpr_kernarg_preload_offset 0
		.amdhsa_user_sgpr_private_segment_size 0
		.amdhsa_wavefront_size32 1
		.amdhsa_uses_dynamic_stack 0
		.amdhsa_enable_private_segment 0
		.amdhsa_system_sgpr_workgroup_id_x 1
		.amdhsa_system_sgpr_workgroup_id_y 0
		.amdhsa_system_sgpr_workgroup_id_z 0
		.amdhsa_system_sgpr_workgroup_info 0
		.amdhsa_system_vgpr_workitem_id 0
		.amdhsa_next_free_vgpr 22
		.amdhsa_next_free_sgpr 7
		.amdhsa_named_barrier_count 0
		.amdhsa_reserve_vcc 0
		.amdhsa_float_round_mode_32 0
		.amdhsa_float_round_mode_16_64 0
		.amdhsa_float_denorm_mode_32 3
		.amdhsa_float_denorm_mode_16_64 3
		.amdhsa_fp16_overflow 0
		.amdhsa_memory_ordered 1
		.amdhsa_forward_progress 1
		.amdhsa_inst_pref_size 5
		.amdhsa_round_robin_scheduling 0
		.amdhsa_exception_fp_ieee_invalid_op 0
		.amdhsa_exception_fp_denorm_src 0
		.amdhsa_exception_fp_ieee_div_zero 0
		.amdhsa_exception_fp_ieee_overflow 0
		.amdhsa_exception_fp_ieee_underflow 0
		.amdhsa_exception_fp_ieee_inexact 0
		.amdhsa_exception_int_div_zero 0
	.end_amdhsa_kernel
	.section	.text._Z6kernelI18blocked_to_stripedaLj256ELj8ELj100EEvPKT0_PKjPS1_,"axG",@progbits,_Z6kernelI18blocked_to_stripedaLj256ELj8ELj100EEvPKT0_PKjPS1_,comdat
.Lfunc_end11:
	.size	_Z6kernelI18blocked_to_stripedaLj256ELj8ELj100EEvPKT0_PKjPS1_, .Lfunc_end11-_Z6kernelI18blocked_to_stripedaLj256ELj8ELj100EEvPKT0_PKjPS1_
                                        ; -- End function
	.set _Z6kernelI18blocked_to_stripedaLj256ELj8ELj100EEvPKT0_PKjPS1_.num_vgpr, 22
	.set _Z6kernelI18blocked_to_stripedaLj256ELj8ELj100EEvPKT0_PKjPS1_.num_agpr, 0
	.set _Z6kernelI18blocked_to_stripedaLj256ELj8ELj100EEvPKT0_PKjPS1_.numbered_sgpr, 7
	.set _Z6kernelI18blocked_to_stripedaLj256ELj8ELj100EEvPKT0_PKjPS1_.num_named_barrier, 0
	.set _Z6kernelI18blocked_to_stripedaLj256ELj8ELj100EEvPKT0_PKjPS1_.private_seg_size, 0
	.set _Z6kernelI18blocked_to_stripedaLj256ELj8ELj100EEvPKT0_PKjPS1_.uses_vcc, 0
	.set _Z6kernelI18blocked_to_stripedaLj256ELj8ELj100EEvPKT0_PKjPS1_.uses_flat_scratch, 0
	.set _Z6kernelI18blocked_to_stripedaLj256ELj8ELj100EEvPKT0_PKjPS1_.has_dyn_sized_stack, 0
	.set _Z6kernelI18blocked_to_stripedaLj256ELj8ELj100EEvPKT0_PKjPS1_.has_recursion, 0
	.set _Z6kernelI18blocked_to_stripedaLj256ELj8ELj100EEvPKT0_PKjPS1_.has_indirect_call, 0
	.section	.AMDGPU.csdata,"",@progbits
; Kernel info:
; codeLenInByte = 608
; TotalNumSgprs: 7
; NumVgprs: 22
; ScratchSize: 0
; MemoryBound: 0
; FloatMode: 240
; IeeeMode: 1
; LDSByteSize: 2112 bytes/workgroup (compile time only)
; SGPRBlocks: 0
; VGPRBlocks: 1
; NumSGPRsForWavesPerEU: 7
; NumVGPRsForWavesPerEU: 22
; NamedBarCnt: 0
; Occupancy: 16
; WaveLimiterHint : 1
; COMPUTE_PGM_RSRC2:SCRATCH_EN: 0
; COMPUTE_PGM_RSRC2:USER_SGPR: 2
; COMPUTE_PGM_RSRC2:TRAP_HANDLER: 0
; COMPUTE_PGM_RSRC2:TGID_X_EN: 1
; COMPUTE_PGM_RSRC2:TGID_Y_EN: 0
; COMPUTE_PGM_RSRC2:TGID_Z_EN: 0
; COMPUTE_PGM_RSRC2:TIDIG_COMP_CNT: 0
	.section	.text._Z6kernelI18blocked_to_stripedxLj256ELj1ELj100EEvPKT0_PKjPS1_,"axG",@progbits,_Z6kernelI18blocked_to_stripedxLj256ELj1ELj100EEvPKT0_PKjPS1_,comdat
	.protected	_Z6kernelI18blocked_to_stripedxLj256ELj1ELj100EEvPKT0_PKjPS1_ ; -- Begin function _Z6kernelI18blocked_to_stripedxLj256ELj1ELj100EEvPKT0_PKjPS1_
	.globl	_Z6kernelI18blocked_to_stripedxLj256ELj1ELj100EEvPKT0_PKjPS1_
	.p2align	8
	.type	_Z6kernelI18blocked_to_stripedxLj256ELj1ELj100EEvPKT0_PKjPS1_,@function
_Z6kernelI18blocked_to_stripedxLj256ELj1ELj100EEvPKT0_PKjPS1_: ; @_Z6kernelI18blocked_to_stripedxLj256ELj1ELj100EEvPKT0_PKjPS1_
; %bb.0:
	s_load_b64 s[4:5], s[0:1], 0x0
	s_bfe_u32 s2, ttmp6, 0x4000c
	s_and_b32 s3, ttmp6, 15
	s_add_co_i32 s2, s2, 1
	s_getreg_b32 s6, hwreg(HW_REG_IB_STS2, 6, 4)
	s_mul_i32 s2, ttmp9, s2
	v_lshlrev_b32_e32 v1, 3, v0
	s_add_co_i32 s3, s3, s2
	s_cmp_eq_u32 s6, 0
	s_cselect_b32 s2, ttmp9, s3
	s_mov_b32 s3, 0
	s_lshl_b32 s2, s2, 8
	s_delay_alu instid0(SALU_CYCLE_1)
	s_lshl_b64 s[2:3], s[2:3], 3
	s_wait_kmcnt 0x0
	s_add_nc_u64 s[4:5], s[4:5], s[2:3]
	global_load_b64 v[2:3], v0, s[4:5] scale_offset
	s_wait_xcnt 0x0
	s_movk_i32 s4, 0x64
.LBB12_1:                               ; =>This Inner Loop Header: Depth=1
	s_wait_loadcnt 0x0
	ds_store_b64 v1, v[2:3]
	s_wait_dscnt 0x0
	s_barrier_signal -1
	s_barrier_wait -1
	ds_load_b64 v[2:3], v1
	s_add_co_i32 s4, s4, -1
	s_wait_dscnt 0x0
	s_cmp_lg_u32 s4, 0
	s_barrier_signal -1
	s_barrier_wait -1
	s_cbranch_scc1 .LBB12_1
; %bb.2:
	s_load_b64 s[0:1], s[0:1], 0x10
	s_wait_kmcnt 0x0
	s_add_nc_u64 s[0:1], s[0:1], s[2:3]
	global_store_b64 v0, v[2:3], s[0:1] scale_offset
	s_endpgm
	.section	.rodata,"a",@progbits
	.p2align	6, 0x0
	.amdhsa_kernel _Z6kernelI18blocked_to_stripedxLj256ELj1ELj100EEvPKT0_PKjPS1_
		.amdhsa_group_segment_fixed_size 2048
		.amdhsa_private_segment_fixed_size 0
		.amdhsa_kernarg_size 24
		.amdhsa_user_sgpr_count 2
		.amdhsa_user_sgpr_dispatch_ptr 0
		.amdhsa_user_sgpr_queue_ptr 0
		.amdhsa_user_sgpr_kernarg_segment_ptr 1
		.amdhsa_user_sgpr_dispatch_id 0
		.amdhsa_user_sgpr_kernarg_preload_length 0
		.amdhsa_user_sgpr_kernarg_preload_offset 0
		.amdhsa_user_sgpr_private_segment_size 0
		.amdhsa_wavefront_size32 1
		.amdhsa_uses_dynamic_stack 0
		.amdhsa_enable_private_segment 0
		.amdhsa_system_sgpr_workgroup_id_x 1
		.amdhsa_system_sgpr_workgroup_id_y 0
		.amdhsa_system_sgpr_workgroup_id_z 0
		.amdhsa_system_sgpr_workgroup_info 0
		.amdhsa_system_vgpr_workitem_id 0
		.amdhsa_next_free_vgpr 4
		.amdhsa_next_free_sgpr 7
		.amdhsa_named_barrier_count 0
		.amdhsa_reserve_vcc 0
		.amdhsa_float_round_mode_32 0
		.amdhsa_float_round_mode_16_64 0
		.amdhsa_float_denorm_mode_32 3
		.amdhsa_float_denorm_mode_16_64 3
		.amdhsa_fp16_overflow 0
		.amdhsa_memory_ordered 1
		.amdhsa_forward_progress 1
		.amdhsa_inst_pref_size 2
		.amdhsa_round_robin_scheduling 0
		.amdhsa_exception_fp_ieee_invalid_op 0
		.amdhsa_exception_fp_denorm_src 0
		.amdhsa_exception_fp_ieee_div_zero 0
		.amdhsa_exception_fp_ieee_overflow 0
		.amdhsa_exception_fp_ieee_underflow 0
		.amdhsa_exception_fp_ieee_inexact 0
		.amdhsa_exception_int_div_zero 0
	.end_amdhsa_kernel
	.section	.text._Z6kernelI18blocked_to_stripedxLj256ELj1ELj100EEvPKT0_PKjPS1_,"axG",@progbits,_Z6kernelI18blocked_to_stripedxLj256ELj1ELj100EEvPKT0_PKjPS1_,comdat
.Lfunc_end12:
	.size	_Z6kernelI18blocked_to_stripedxLj256ELj1ELj100EEvPKT0_PKjPS1_, .Lfunc_end12-_Z6kernelI18blocked_to_stripedxLj256ELj1ELj100EEvPKT0_PKjPS1_
                                        ; -- End function
	.set _Z6kernelI18blocked_to_stripedxLj256ELj1ELj100EEvPKT0_PKjPS1_.num_vgpr, 4
	.set _Z6kernelI18blocked_to_stripedxLj256ELj1ELj100EEvPKT0_PKjPS1_.num_agpr, 0
	.set _Z6kernelI18blocked_to_stripedxLj256ELj1ELj100EEvPKT0_PKjPS1_.numbered_sgpr, 7
	.set _Z6kernelI18blocked_to_stripedxLj256ELj1ELj100EEvPKT0_PKjPS1_.num_named_barrier, 0
	.set _Z6kernelI18blocked_to_stripedxLj256ELj1ELj100EEvPKT0_PKjPS1_.private_seg_size, 0
	.set _Z6kernelI18blocked_to_stripedxLj256ELj1ELj100EEvPKT0_PKjPS1_.uses_vcc, 0
	.set _Z6kernelI18blocked_to_stripedxLj256ELj1ELj100EEvPKT0_PKjPS1_.uses_flat_scratch, 0
	.set _Z6kernelI18blocked_to_stripedxLj256ELj1ELj100EEvPKT0_PKjPS1_.has_dyn_sized_stack, 0
	.set _Z6kernelI18blocked_to_stripedxLj256ELj1ELj100EEvPKT0_PKjPS1_.has_recursion, 0
	.set _Z6kernelI18blocked_to_stripedxLj256ELj1ELj100EEvPKT0_PKjPS1_.has_indirect_call, 0
	.section	.AMDGPU.csdata,"",@progbits
; Kernel info:
; codeLenInByte = 180
; TotalNumSgprs: 7
; NumVgprs: 4
; ScratchSize: 0
; MemoryBound: 0
; FloatMode: 240
; IeeeMode: 1
; LDSByteSize: 2048 bytes/workgroup (compile time only)
; SGPRBlocks: 0
; VGPRBlocks: 0
; NumSGPRsForWavesPerEU: 7
; NumVGPRsForWavesPerEU: 4
; NamedBarCnt: 0
; Occupancy: 16
; WaveLimiterHint : 0
; COMPUTE_PGM_RSRC2:SCRATCH_EN: 0
; COMPUTE_PGM_RSRC2:USER_SGPR: 2
; COMPUTE_PGM_RSRC2:TRAP_HANDLER: 0
; COMPUTE_PGM_RSRC2:TGID_X_EN: 1
; COMPUTE_PGM_RSRC2:TGID_Y_EN: 0
; COMPUTE_PGM_RSRC2:TGID_Z_EN: 0
; COMPUTE_PGM_RSRC2:TIDIG_COMP_CNT: 0
	.section	.text._Z6kernelI18blocked_to_stripedxLj256ELj2ELj100EEvPKT0_PKjPS1_,"axG",@progbits,_Z6kernelI18blocked_to_stripedxLj256ELj2ELj100EEvPKT0_PKjPS1_,comdat
	.protected	_Z6kernelI18blocked_to_stripedxLj256ELj2ELj100EEvPKT0_PKjPS1_ ; -- Begin function _Z6kernelI18blocked_to_stripedxLj256ELj2ELj100EEvPKT0_PKjPS1_
	.globl	_Z6kernelI18blocked_to_stripedxLj256ELj2ELj100EEvPKT0_PKjPS1_
	.p2align	8
	.type	_Z6kernelI18blocked_to_stripedxLj256ELj2ELj100EEvPKT0_PKjPS1_,@function
_Z6kernelI18blocked_to_stripedxLj256ELj2ELj100EEvPKT0_PKjPS1_: ; @_Z6kernelI18blocked_to_stripedxLj256ELj2ELj100EEvPKT0_PKjPS1_
; %bb.0:
	s_load_b64 s[4:5], s[0:1], 0x0
	s_bfe_u32 s2, ttmp6, 0x4000c
	s_and_b32 s3, ttmp6, 15
	s_add_co_i32 s2, s2, 1
	s_getreg_b32 s6, hwreg(HW_REG_IB_STS2, 6, 4)
	s_mul_i32 s2, ttmp9, s2
	v_or_b32_e32 v1, 0x100, v0
	s_add_co_i32 s3, s3, s2
	s_cmp_eq_u32 s6, 0
	v_dual_lshrrev_b32 v6, 1, v0 :: v_dual_lshrrev_b32 v7, 2, v0
	s_cselect_b32 s2, ttmp9, s3
	s_mov_b32 s3, 0
	s_lshl_b32 s2, s2, 9
	s_delay_alu instid0(VALU_DEP_1) | instskip(SKIP_3) | instid1(VALU_DEP_3)
	v_dual_lshrrev_b32 v1, 2, v1 :: v_dual_bitop2_b32 v7, 56, v7 bitop3:0x40
	s_lshl_b64 s[2:3], s[2:3], 3
	v_and_b32_e32 v6, 0x78, v6
	v_lshlrev_b32_e32 v8, 3, v0
	v_and_b32_e32 v9, 0x78, v1
	s_wait_kmcnt 0x0
	s_add_nc_u64 s[4:5], s[4:5], s[2:3]
	v_lshl_add_u32 v1, v0, 4, v6
	global_load_b128 v[2:5], v0, s[4:5] scale_offset
	v_dual_add_nc_u32 v6, v7, v8 :: v_dual_add_nc_u32 v7, v9, v8
	s_wait_xcnt 0x0
	s_movk_i32 s4, 0x64
.LBB13_1:                               ; =>This Inner Loop Header: Depth=1
	s_wait_loadcnt 0x0
	ds_store_2addr_b64 v1, v[2:3], v[4:5] offset1:1
	s_wait_dscnt 0x0
	s_barrier_signal -1
	s_barrier_wait -1
	ds_load_b64 v[2:3], v6
	ds_load_b64 v[4:5], v7 offset:2048
	s_add_co_i32 s4, s4, -1
	s_wait_dscnt 0x0
	s_cmp_lg_u32 s4, 0
	s_barrier_signal -1
	s_barrier_wait -1
	s_cbranch_scc1 .LBB13_1
; %bb.2:
	s_load_b64 s[0:1], s[0:1], 0x10
	s_wait_kmcnt 0x0
	s_add_nc_u64 s[0:1], s[0:1], s[2:3]
	s_clause 0x1
	global_store_b64 v0, v[2:3], s[0:1] scale_offset
	global_store_b64 v0, v[4:5], s[0:1] offset:2048 scale_offset
	s_endpgm
	.section	.rodata,"a",@progbits
	.p2align	6, 0x0
	.amdhsa_kernel _Z6kernelI18blocked_to_stripedxLj256ELj2ELj100EEvPKT0_PKjPS1_
		.amdhsa_group_segment_fixed_size 4224
		.amdhsa_private_segment_fixed_size 0
		.amdhsa_kernarg_size 24
		.amdhsa_user_sgpr_count 2
		.amdhsa_user_sgpr_dispatch_ptr 0
		.amdhsa_user_sgpr_queue_ptr 0
		.amdhsa_user_sgpr_kernarg_segment_ptr 1
		.amdhsa_user_sgpr_dispatch_id 0
		.amdhsa_user_sgpr_kernarg_preload_length 0
		.amdhsa_user_sgpr_kernarg_preload_offset 0
		.amdhsa_user_sgpr_private_segment_size 0
		.amdhsa_wavefront_size32 1
		.amdhsa_uses_dynamic_stack 0
		.amdhsa_enable_private_segment 0
		.amdhsa_system_sgpr_workgroup_id_x 1
		.amdhsa_system_sgpr_workgroup_id_y 0
		.amdhsa_system_sgpr_workgroup_id_z 0
		.amdhsa_system_sgpr_workgroup_info 0
		.amdhsa_system_vgpr_workitem_id 0
		.amdhsa_next_free_vgpr 10
		.amdhsa_next_free_sgpr 7
		.amdhsa_named_barrier_count 0
		.amdhsa_reserve_vcc 0
		.amdhsa_float_round_mode_32 0
		.amdhsa_float_round_mode_16_64 0
		.amdhsa_float_denorm_mode_32 3
		.amdhsa_float_denorm_mode_16_64 3
		.amdhsa_fp16_overflow 0
		.amdhsa_memory_ordered 1
		.amdhsa_forward_progress 1
		.amdhsa_inst_pref_size 3
		.amdhsa_round_robin_scheduling 0
		.amdhsa_exception_fp_ieee_invalid_op 0
		.amdhsa_exception_fp_denorm_src 0
		.amdhsa_exception_fp_ieee_div_zero 0
		.amdhsa_exception_fp_ieee_overflow 0
		.amdhsa_exception_fp_ieee_underflow 0
		.amdhsa_exception_fp_ieee_inexact 0
		.amdhsa_exception_int_div_zero 0
	.end_amdhsa_kernel
	.section	.text._Z6kernelI18blocked_to_stripedxLj256ELj2ELj100EEvPKT0_PKjPS1_,"axG",@progbits,_Z6kernelI18blocked_to_stripedxLj256ELj2ELj100EEvPKT0_PKjPS1_,comdat
.Lfunc_end13:
	.size	_Z6kernelI18blocked_to_stripedxLj256ELj2ELj100EEvPKT0_PKjPS1_, .Lfunc_end13-_Z6kernelI18blocked_to_stripedxLj256ELj2ELj100EEvPKT0_PKjPS1_
                                        ; -- End function
	.set _Z6kernelI18blocked_to_stripedxLj256ELj2ELj100EEvPKT0_PKjPS1_.num_vgpr, 10
	.set _Z6kernelI18blocked_to_stripedxLj256ELj2ELj100EEvPKT0_PKjPS1_.num_agpr, 0
	.set _Z6kernelI18blocked_to_stripedxLj256ELj2ELj100EEvPKT0_PKjPS1_.numbered_sgpr, 7
	.set _Z6kernelI18blocked_to_stripedxLj256ELj2ELj100EEvPKT0_PKjPS1_.num_named_barrier, 0
	.set _Z6kernelI18blocked_to_stripedxLj256ELj2ELj100EEvPKT0_PKjPS1_.private_seg_size, 0
	.set _Z6kernelI18blocked_to_stripedxLj256ELj2ELj100EEvPKT0_PKjPS1_.uses_vcc, 0
	.set _Z6kernelI18blocked_to_stripedxLj256ELj2ELj100EEvPKT0_PKjPS1_.uses_flat_scratch, 0
	.set _Z6kernelI18blocked_to_stripedxLj256ELj2ELj100EEvPKT0_PKjPS1_.has_dyn_sized_stack, 0
	.set _Z6kernelI18blocked_to_stripedxLj256ELj2ELj100EEvPKT0_PKjPS1_.has_recursion, 0
	.set _Z6kernelI18blocked_to_stripedxLj256ELj2ELj100EEvPKT0_PKjPS1_.has_indirect_call, 0
	.section	.AMDGPU.csdata,"",@progbits
; Kernel info:
; codeLenInByte = 272
; TotalNumSgprs: 7
; NumVgprs: 10
; ScratchSize: 0
; MemoryBound: 0
; FloatMode: 240
; IeeeMode: 1
; LDSByteSize: 4224 bytes/workgroup (compile time only)
; SGPRBlocks: 0
; VGPRBlocks: 0
; NumSGPRsForWavesPerEU: 7
; NumVGPRsForWavesPerEU: 10
; NamedBarCnt: 0
; Occupancy: 16
; WaveLimiterHint : 1
; COMPUTE_PGM_RSRC2:SCRATCH_EN: 0
; COMPUTE_PGM_RSRC2:USER_SGPR: 2
; COMPUTE_PGM_RSRC2:TRAP_HANDLER: 0
; COMPUTE_PGM_RSRC2:TGID_X_EN: 1
; COMPUTE_PGM_RSRC2:TGID_Y_EN: 0
; COMPUTE_PGM_RSRC2:TGID_Z_EN: 0
; COMPUTE_PGM_RSRC2:TIDIG_COMP_CNT: 0
	.section	.text._Z6kernelI18blocked_to_stripedxLj256ELj3ELj100EEvPKT0_PKjPS1_,"axG",@progbits,_Z6kernelI18blocked_to_stripedxLj256ELj3ELj100EEvPKT0_PKjPS1_,comdat
	.protected	_Z6kernelI18blocked_to_stripedxLj256ELj3ELj100EEvPKT0_PKjPS1_ ; -- Begin function _Z6kernelI18blocked_to_stripedxLj256ELj3ELj100EEvPKT0_PKjPS1_
	.globl	_Z6kernelI18blocked_to_stripedxLj256ELj3ELj100EEvPKT0_PKjPS1_
	.p2align	8
	.type	_Z6kernelI18blocked_to_stripedxLj256ELj3ELj100EEvPKT0_PKjPS1_,@function
_Z6kernelI18blocked_to_stripedxLj256ELj3ELj100EEvPKT0_PKjPS1_: ; @_Z6kernelI18blocked_to_stripedxLj256ELj3ELj100EEvPKT0_PKjPS1_
; %bb.0:
	s_load_b64 s[4:5], s[0:1], 0x0
	s_bfe_u32 s2, ttmp6, 0x4000c
	s_and_b32 s3, ttmp6, 15
	s_add_co_i32 s2, s2, 1
	s_getreg_b32 s6, hwreg(HW_REG_IB_STS2, 6, 4)
	s_mul_i32 s2, ttmp9, s2
	v_mul_u32_u24_e32 v8, 3, v0
	s_add_co_i32 s3, s3, s2
	s_cmp_eq_u32 s6, 0
	s_cselect_b32 s2, ttmp9, s3
	s_mov_b32 s3, 0
	s_mulk_i32 s2, 0x300
	v_lshlrev_b32_e32 v1, 3, v8
	s_lshl_b64 s[2:3], s[2:3], 3
	s_wait_kmcnt 0x0
	s_add_nc_u64 s[4:5], s[4:5], s[2:3]
	s_clause 0x1
	global_load_b64 v[6:7], v8, s[4:5] offset:16 scale_offset
	global_load_b128 v[2:5], v1, s[4:5]
	s_wait_xcnt 0x1
	v_lshlrev_b32_e32 v8, 4, v0
	s_wait_xcnt 0x0
	s_movk_i32 s4, 0x64
	s_delay_alu instid0(VALU_DEP_1) | instskip(NEXT) | instid1(VALU_DEP_1)
	v_sub_nc_u32_e32 v8, 0, v8
	v_add_nc_u32_e32 v8, v1, v8
.LBB14_1:                               ; =>This Inner Loop Header: Depth=1
	s_wait_loadcnt 0x0
	ds_store_2addr_b64 v1, v[2:3], v[4:5] offset1:1
	ds_store_b64 v1, v[6:7] offset:16
	s_wait_dscnt 0x0
	s_barrier_signal -1
	s_barrier_wait -1
	ds_load_2addr_stride64_b64 v[2:5], v8 offset1:4
	ds_load_b64 v[6:7], v8 offset:4096
	s_add_co_i32 s4, s4, -1
	s_wait_dscnt 0x0
	s_cmp_lg_u32 s4, 0
	s_barrier_signal -1
	s_barrier_wait -1
	s_cbranch_scc1 .LBB14_1
; %bb.2:
	s_load_b64 s[0:1], s[0:1], 0x10
	s_wait_kmcnt 0x0
	s_add_nc_u64 s[0:1], s[0:1], s[2:3]
	s_clause 0x2
	global_store_b64 v0, v[2:3], s[0:1] scale_offset
	global_store_b64 v0, v[4:5], s[0:1] offset:2048 scale_offset
	global_store_b64 v0, v[6:7], s[0:1] offset:4096 scale_offset
	s_endpgm
	.section	.rodata,"a",@progbits
	.p2align	6, 0x0
	.amdhsa_kernel _Z6kernelI18blocked_to_stripedxLj256ELj3ELj100EEvPKT0_PKjPS1_
		.amdhsa_group_segment_fixed_size 6144
		.amdhsa_private_segment_fixed_size 0
		.amdhsa_kernarg_size 24
		.amdhsa_user_sgpr_count 2
		.amdhsa_user_sgpr_dispatch_ptr 0
		.amdhsa_user_sgpr_queue_ptr 0
		.amdhsa_user_sgpr_kernarg_segment_ptr 1
		.amdhsa_user_sgpr_dispatch_id 0
		.amdhsa_user_sgpr_kernarg_preload_length 0
		.amdhsa_user_sgpr_kernarg_preload_offset 0
		.amdhsa_user_sgpr_private_segment_size 0
		.amdhsa_wavefront_size32 1
		.amdhsa_uses_dynamic_stack 0
		.amdhsa_enable_private_segment 0
		.amdhsa_system_sgpr_workgroup_id_x 1
		.amdhsa_system_sgpr_workgroup_id_y 0
		.amdhsa_system_sgpr_workgroup_id_z 0
		.amdhsa_system_sgpr_workgroup_info 0
		.amdhsa_system_vgpr_workitem_id 0
		.amdhsa_next_free_vgpr 9
		.amdhsa_next_free_sgpr 7
		.amdhsa_named_barrier_count 0
		.amdhsa_reserve_vcc 0
		.amdhsa_float_round_mode_32 0
		.amdhsa_float_round_mode_16_64 0
		.amdhsa_float_denorm_mode_32 3
		.amdhsa_float_denorm_mode_16_64 3
		.amdhsa_fp16_overflow 0
		.amdhsa_memory_ordered 1
		.amdhsa_forward_progress 1
		.amdhsa_inst_pref_size 3
		.amdhsa_round_robin_scheduling 0
		.amdhsa_exception_fp_ieee_invalid_op 0
		.amdhsa_exception_fp_denorm_src 0
		.amdhsa_exception_fp_ieee_div_zero 0
		.amdhsa_exception_fp_ieee_overflow 0
		.amdhsa_exception_fp_ieee_underflow 0
		.amdhsa_exception_fp_ieee_inexact 0
		.amdhsa_exception_int_div_zero 0
	.end_amdhsa_kernel
	.section	.text._Z6kernelI18blocked_to_stripedxLj256ELj3ELj100EEvPKT0_PKjPS1_,"axG",@progbits,_Z6kernelI18blocked_to_stripedxLj256ELj3ELj100EEvPKT0_PKjPS1_,comdat
.Lfunc_end14:
	.size	_Z6kernelI18blocked_to_stripedxLj256ELj3ELj100EEvPKT0_PKjPS1_, .Lfunc_end14-_Z6kernelI18blocked_to_stripedxLj256ELj3ELj100EEvPKT0_PKjPS1_
                                        ; -- End function
	.set _Z6kernelI18blocked_to_stripedxLj256ELj3ELj100EEvPKT0_PKjPS1_.num_vgpr, 9
	.set _Z6kernelI18blocked_to_stripedxLj256ELj3ELj100EEvPKT0_PKjPS1_.num_agpr, 0
	.set _Z6kernelI18blocked_to_stripedxLj256ELj3ELj100EEvPKT0_PKjPS1_.numbered_sgpr, 7
	.set _Z6kernelI18blocked_to_stripedxLj256ELj3ELj100EEvPKT0_PKjPS1_.num_named_barrier, 0
	.set _Z6kernelI18blocked_to_stripedxLj256ELj3ELj100EEvPKT0_PKjPS1_.private_seg_size, 0
	.set _Z6kernelI18blocked_to_stripedxLj256ELj3ELj100EEvPKT0_PKjPS1_.uses_vcc, 0
	.set _Z6kernelI18blocked_to_stripedxLj256ELj3ELj100EEvPKT0_PKjPS1_.uses_flat_scratch, 0
	.set _Z6kernelI18blocked_to_stripedxLj256ELj3ELj100EEvPKT0_PKjPS1_.has_dyn_sized_stack, 0
	.set _Z6kernelI18blocked_to_stripedxLj256ELj3ELj100EEvPKT0_PKjPS1_.has_recursion, 0
	.set _Z6kernelI18blocked_to_stripedxLj256ELj3ELj100EEvPKT0_PKjPS1_.has_indirect_call, 0
	.section	.AMDGPU.csdata,"",@progbits
; Kernel info:
; codeLenInByte = 260
; TotalNumSgprs: 7
; NumVgprs: 9
; ScratchSize: 0
; MemoryBound: 0
; FloatMode: 240
; IeeeMode: 1
; LDSByteSize: 6144 bytes/workgroup (compile time only)
; SGPRBlocks: 0
; VGPRBlocks: 0
; NumSGPRsForWavesPerEU: 7
; NumVGPRsForWavesPerEU: 9
; NamedBarCnt: 0
; Occupancy: 16
; WaveLimiterHint : 1
; COMPUTE_PGM_RSRC2:SCRATCH_EN: 0
; COMPUTE_PGM_RSRC2:USER_SGPR: 2
; COMPUTE_PGM_RSRC2:TRAP_HANDLER: 0
; COMPUTE_PGM_RSRC2:TGID_X_EN: 1
; COMPUTE_PGM_RSRC2:TGID_Y_EN: 0
; COMPUTE_PGM_RSRC2:TGID_Z_EN: 0
; COMPUTE_PGM_RSRC2:TIDIG_COMP_CNT: 0
	.section	.text._Z6kernelI18blocked_to_stripedxLj256ELj4ELj100EEvPKT0_PKjPS1_,"axG",@progbits,_Z6kernelI18blocked_to_stripedxLj256ELj4ELj100EEvPKT0_PKjPS1_,comdat
	.protected	_Z6kernelI18blocked_to_stripedxLj256ELj4ELj100EEvPKT0_PKjPS1_ ; -- Begin function _Z6kernelI18blocked_to_stripedxLj256ELj4ELj100EEvPKT0_PKjPS1_
	.globl	_Z6kernelI18blocked_to_stripedxLj256ELj4ELj100EEvPKT0_PKjPS1_
	.p2align	8
	.type	_Z6kernelI18blocked_to_stripedxLj256ELj4ELj100EEvPKT0_PKjPS1_,@function
_Z6kernelI18blocked_to_stripedxLj256ELj4ELj100EEvPKT0_PKjPS1_: ; @_Z6kernelI18blocked_to_stripedxLj256ELj4ELj100EEvPKT0_PKjPS1_
; %bb.0:
	s_load_b64 s[4:5], s[0:1], 0x0
	s_bfe_u32 s2, ttmp6, 0x4000c
	s_and_b32 s3, ttmp6, 15
	s_add_co_i32 s2, s2, 1
	s_getreg_b32 s6, hwreg(HW_REG_IB_STS2, 6, 4)
	s_mul_i32 s2, ttmp9, s2
	v_dual_lshlrev_b32 v1, 5, v0 :: v_dual_lshrrev_b32 v13, 2, v0
	s_add_co_i32 s3, s3, s2
	s_cmp_eq_u32 s6, 0
	v_or_b32_e32 v10, 0x100, v0
	s_cselect_b32 s2, ttmp9, s3
	s_mov_b32 s3, 0
	s_lshl_b32 s2, s2, 10
	v_or_b32_e32 v11, 0x200, v0
	s_lshl_b64 s[2:3], s[2:3], 3
	v_or_b32_e32 v12, 0x300, v0
	v_lshrrev_b32_e32 v10, 2, v10
	v_and_b32_e32 v14, 0xf8, v0
	v_lshrrev_b32_e32 v11, 2, v11
	s_wait_kmcnt 0x0
	s_add_nc_u64 s[4:5], s[4:5], s[2:3]
	v_dual_lshrrev_b32 v12, 2, v12 :: v_dual_bitop2_b32 v13, 56, v13 bitop3:0x40
	s_clause 0x1
	global_load_b128 v[2:5], v1, s[4:5] offset:16
	global_load_b128 v[6:9], v1, s[4:5]
	s_wait_xcnt 0x0
	v_dual_lshlrev_b32 v15, 3, v0 :: v_dual_add_nc_u32 v1, v14, v1
	v_and_b32_e32 v16, 0x78, v10
	v_and_b32_e32 v17, 0xb8, v11
	;; [unrolled: 1-line block ×3, first 2 shown]
	s_delay_alu instid0(VALU_DEP_4) | instskip(SKIP_1) | instid1(VALU_DEP_3)
	v_add_nc_u32_e32 v10, v13, v15
	s_movk_i32 s4, 0x64
	v_dual_add_nc_u32 v11, v16, v15 :: v_dual_add_nc_u32 v12, v17, v15
	s_delay_alu instid0(VALU_DEP_3)
	v_add_nc_u32_e32 v13, v18, v15
.LBB15_1:                               ; =>This Inner Loop Header: Depth=1
	s_wait_loadcnt 0x0
	ds_store_2addr_b64 v1, v[6:7], v[8:9] offset1:1
	ds_store_2addr_b64 v1, v[2:3], v[4:5] offset0:2 offset1:3
	s_wait_dscnt 0x0
	s_barrier_signal -1
	s_barrier_wait -1
	ds_load_b64 v[6:7], v10
	ds_load_b64 v[8:9], v11 offset:2048
	ds_load_b64 v[2:3], v12 offset:4096
	;; [unrolled: 1-line block ×3, first 2 shown]
	s_add_co_i32 s4, s4, -1
	s_wait_dscnt 0x0
	s_cmp_lg_u32 s4, 0
	s_barrier_signal -1
	s_barrier_wait -1
	s_cbranch_scc1 .LBB15_1
; %bb.2:
	s_load_b64 s[0:1], s[0:1], 0x10
	s_wait_kmcnt 0x0
	s_add_nc_u64 s[0:1], s[0:1], s[2:3]
	s_clause 0x3
	global_store_b64 v0, v[6:7], s[0:1] scale_offset
	global_store_b64 v0, v[8:9], s[0:1] offset:2048 scale_offset
	global_store_b64 v0, v[2:3], s[0:1] offset:4096 scale_offset
	;; [unrolled: 1-line block ×3, first 2 shown]
	s_endpgm
	.section	.rodata,"a",@progbits
	.p2align	6, 0x0
	.amdhsa_kernel _Z6kernelI18blocked_to_stripedxLj256ELj4ELj100EEvPKT0_PKjPS1_
		.amdhsa_group_segment_fixed_size 8448
		.amdhsa_private_segment_fixed_size 0
		.amdhsa_kernarg_size 24
		.amdhsa_user_sgpr_count 2
		.amdhsa_user_sgpr_dispatch_ptr 0
		.amdhsa_user_sgpr_queue_ptr 0
		.amdhsa_user_sgpr_kernarg_segment_ptr 1
		.amdhsa_user_sgpr_dispatch_id 0
		.amdhsa_user_sgpr_kernarg_preload_length 0
		.amdhsa_user_sgpr_kernarg_preload_offset 0
		.amdhsa_user_sgpr_private_segment_size 0
		.amdhsa_wavefront_size32 1
		.amdhsa_uses_dynamic_stack 0
		.amdhsa_enable_private_segment 0
		.amdhsa_system_sgpr_workgroup_id_x 1
		.amdhsa_system_sgpr_workgroup_id_y 0
		.amdhsa_system_sgpr_workgroup_id_z 0
		.amdhsa_system_sgpr_workgroup_info 0
		.amdhsa_system_vgpr_workitem_id 0
		.amdhsa_next_free_vgpr 19
		.amdhsa_next_free_sgpr 7
		.amdhsa_named_barrier_count 0
		.amdhsa_reserve_vcc 0
		.amdhsa_float_round_mode_32 0
		.amdhsa_float_round_mode_16_64 0
		.amdhsa_float_denorm_mode_32 3
		.amdhsa_float_denorm_mode_16_64 3
		.amdhsa_fp16_overflow 0
		.amdhsa_memory_ordered 1
		.amdhsa_forward_progress 1
		.amdhsa_inst_pref_size 4
		.amdhsa_round_robin_scheduling 0
		.amdhsa_exception_fp_ieee_invalid_op 0
		.amdhsa_exception_fp_denorm_src 0
		.amdhsa_exception_fp_ieee_div_zero 0
		.amdhsa_exception_fp_ieee_overflow 0
		.amdhsa_exception_fp_ieee_underflow 0
		.amdhsa_exception_fp_ieee_inexact 0
		.amdhsa_exception_int_div_zero 0
	.end_amdhsa_kernel
	.section	.text._Z6kernelI18blocked_to_stripedxLj256ELj4ELj100EEvPKT0_PKjPS1_,"axG",@progbits,_Z6kernelI18blocked_to_stripedxLj256ELj4ELj100EEvPKT0_PKjPS1_,comdat
.Lfunc_end15:
	.size	_Z6kernelI18blocked_to_stripedxLj256ELj4ELj100EEvPKT0_PKjPS1_, .Lfunc_end15-_Z6kernelI18blocked_to_stripedxLj256ELj4ELj100EEvPKT0_PKjPS1_
                                        ; -- End function
	.set _Z6kernelI18blocked_to_stripedxLj256ELj4ELj100EEvPKT0_PKjPS1_.num_vgpr, 19
	.set _Z6kernelI18blocked_to_stripedxLj256ELj4ELj100EEvPKT0_PKjPS1_.num_agpr, 0
	.set _Z6kernelI18blocked_to_stripedxLj256ELj4ELj100EEvPKT0_PKjPS1_.numbered_sgpr, 7
	.set _Z6kernelI18blocked_to_stripedxLj256ELj4ELj100EEvPKT0_PKjPS1_.num_named_barrier, 0
	.set _Z6kernelI18blocked_to_stripedxLj256ELj4ELj100EEvPKT0_PKjPS1_.private_seg_size, 0
	.set _Z6kernelI18blocked_to_stripedxLj256ELj4ELj100EEvPKT0_PKjPS1_.uses_vcc, 0
	.set _Z6kernelI18blocked_to_stripedxLj256ELj4ELj100EEvPKT0_PKjPS1_.uses_flat_scratch, 0
	.set _Z6kernelI18blocked_to_stripedxLj256ELj4ELj100EEvPKT0_PKjPS1_.has_dyn_sized_stack, 0
	.set _Z6kernelI18blocked_to_stripedxLj256ELj4ELj100EEvPKT0_PKjPS1_.has_recursion, 0
	.set _Z6kernelI18blocked_to_stripedxLj256ELj4ELj100EEvPKT0_PKjPS1_.has_indirect_call, 0
	.section	.AMDGPU.csdata,"",@progbits
; Kernel info:
; codeLenInByte = 388
; TotalNumSgprs: 7
; NumVgprs: 19
; ScratchSize: 0
; MemoryBound: 0
; FloatMode: 240
; IeeeMode: 1
; LDSByteSize: 8448 bytes/workgroup (compile time only)
; SGPRBlocks: 0
; VGPRBlocks: 1
; NumSGPRsForWavesPerEU: 7
; NumVGPRsForWavesPerEU: 19
; NamedBarCnt: 0
; Occupancy: 16
; WaveLimiterHint : 1
; COMPUTE_PGM_RSRC2:SCRATCH_EN: 0
; COMPUTE_PGM_RSRC2:USER_SGPR: 2
; COMPUTE_PGM_RSRC2:TRAP_HANDLER: 0
; COMPUTE_PGM_RSRC2:TGID_X_EN: 1
; COMPUTE_PGM_RSRC2:TGID_Y_EN: 0
; COMPUTE_PGM_RSRC2:TGID_Z_EN: 0
; COMPUTE_PGM_RSRC2:TIDIG_COMP_CNT: 0
	.section	.text._Z6kernelI18blocked_to_stripedxLj256ELj7ELj100EEvPKT0_PKjPS1_,"axG",@progbits,_Z6kernelI18blocked_to_stripedxLj256ELj7ELj100EEvPKT0_PKjPS1_,comdat
	.protected	_Z6kernelI18blocked_to_stripedxLj256ELj7ELj100EEvPKT0_PKjPS1_ ; -- Begin function _Z6kernelI18blocked_to_stripedxLj256ELj7ELj100EEvPKT0_PKjPS1_
	.globl	_Z6kernelI18blocked_to_stripedxLj256ELj7ELj100EEvPKT0_PKjPS1_
	.p2align	8
	.type	_Z6kernelI18blocked_to_stripedxLj256ELj7ELj100EEvPKT0_PKjPS1_,@function
_Z6kernelI18blocked_to_stripedxLj256ELj7ELj100EEvPKT0_PKjPS1_: ; @_Z6kernelI18blocked_to_stripedxLj256ELj7ELj100EEvPKT0_PKjPS1_
; %bb.0:
	s_load_b64 s[4:5], s[0:1], 0x0
	s_bfe_u32 s2, ttmp6, 0x4000c
	s_and_b32 s3, ttmp6, 15
	s_add_co_i32 s2, s2, 1
	s_getreg_b32 s6, hwreg(HW_REG_IB_STS2, 6, 4)
	s_mul_i32 s2, ttmp9, s2
	v_mul_u32_u24_e32 v16, 7, v0
	s_add_co_i32 s3, s3, s2
	s_cmp_eq_u32 s6, 0
	s_cselect_b32 s2, ttmp9, s3
	s_mov_b32 s3, 0
	s_mulk_i32 s2, 0x700
	v_lshlrev_b32_e32 v1, 3, v16
	s_lshl_b64 s[2:3], s[2:3], 3
	s_wait_kmcnt 0x0
	s_add_nc_u64 s[4:5], s[4:5], s[2:3]
	s_clause 0x3
	global_load_b64 v[14:15], v16, s[4:5] offset:48 scale_offset
	global_load_b128 v[2:5], v1, s[4:5] offset:32
	global_load_b128 v[6:9], v1, s[4:5] offset:16
	global_load_b128 v[10:13], v1, s[4:5]
	s_wait_xcnt 0x3
	v_mul_i32_i24_e32 v16, 0xffffffd0, v0
	s_wait_xcnt 0x0
	s_movk_i32 s4, 0x64
	s_delay_alu instid0(VALU_DEP_1)
	v_add_nc_u32_e32 v16, v1, v16
.LBB16_1:                               ; =>This Inner Loop Header: Depth=1
	s_wait_loadcnt 0x0
	ds_store_2addr_b64 v1, v[10:11], v[12:13] offset1:1
	ds_store_2addr_b64 v1, v[6:7], v[8:9] offset0:2 offset1:3
	ds_store_2addr_b64 v1, v[2:3], v[4:5] offset0:4 offset1:5
	ds_store_b64 v1, v[14:15] offset:48
	s_wait_dscnt 0x0
	s_barrier_signal -1
	s_barrier_wait -1
	ds_load_2addr_stride64_b64 v[10:13], v16 offset1:4
	ds_load_2addr_stride64_b64 v[6:9], v16 offset0:8 offset1:12
	ds_load_2addr_stride64_b64 v[2:5], v16 offset0:16 offset1:20
	ds_load_b64 v[14:15], v16 offset:12288
	s_add_co_i32 s4, s4, -1
	s_wait_dscnt 0x0
	s_cmp_lg_u32 s4, 0
	s_barrier_signal -1
	s_barrier_wait -1
	s_cbranch_scc1 .LBB16_1
; %bb.2:
	s_load_b64 s[0:1], s[0:1], 0x10
	s_wait_kmcnt 0x0
	s_add_nc_u64 s[0:1], s[0:1], s[2:3]
	s_clause 0x6
	global_store_b64 v0, v[10:11], s[0:1] scale_offset
	global_store_b64 v0, v[12:13], s[0:1] offset:2048 scale_offset
	global_store_b64 v0, v[6:7], s[0:1] offset:4096 scale_offset
	global_store_b64 v0, v[8:9], s[0:1] offset:6144 scale_offset
	global_store_b64 v0, v[2:3], s[0:1] offset:8192 scale_offset
	global_store_b64 v0, v[4:5], s[0:1] offset:10240 scale_offset
	global_store_b64 v0, v[14:15], s[0:1] offset:12288 scale_offset
	s_endpgm
	.section	.rodata,"a",@progbits
	.p2align	6, 0x0
	.amdhsa_kernel _Z6kernelI18blocked_to_stripedxLj256ELj7ELj100EEvPKT0_PKjPS1_
		.amdhsa_group_segment_fixed_size 14336
		.amdhsa_private_segment_fixed_size 0
		.amdhsa_kernarg_size 24
		.amdhsa_user_sgpr_count 2
		.amdhsa_user_sgpr_dispatch_ptr 0
		.amdhsa_user_sgpr_queue_ptr 0
		.amdhsa_user_sgpr_kernarg_segment_ptr 1
		.amdhsa_user_sgpr_dispatch_id 0
		.amdhsa_user_sgpr_kernarg_preload_length 0
		.amdhsa_user_sgpr_kernarg_preload_offset 0
		.amdhsa_user_sgpr_private_segment_size 0
		.amdhsa_wavefront_size32 1
		.amdhsa_uses_dynamic_stack 0
		.amdhsa_enable_private_segment 0
		.amdhsa_system_sgpr_workgroup_id_x 1
		.amdhsa_system_sgpr_workgroup_id_y 0
		.amdhsa_system_sgpr_workgroup_id_z 0
		.amdhsa_system_sgpr_workgroup_info 0
		.amdhsa_system_vgpr_workitem_id 0
		.amdhsa_next_free_vgpr 17
		.amdhsa_next_free_sgpr 7
		.amdhsa_named_barrier_count 0
		.amdhsa_reserve_vcc 0
		.amdhsa_float_round_mode_32 0
		.amdhsa_float_round_mode_16_64 0
		.amdhsa_float_denorm_mode_32 3
		.amdhsa_float_denorm_mode_16_64 3
		.amdhsa_fp16_overflow 0
		.amdhsa_memory_ordered 1
		.amdhsa_forward_progress 1
		.amdhsa_inst_pref_size 3
		.amdhsa_round_robin_scheduling 0
		.amdhsa_exception_fp_ieee_invalid_op 0
		.amdhsa_exception_fp_denorm_src 0
		.amdhsa_exception_fp_ieee_div_zero 0
		.amdhsa_exception_fp_ieee_overflow 0
		.amdhsa_exception_fp_ieee_underflow 0
		.amdhsa_exception_fp_ieee_inexact 0
		.amdhsa_exception_int_div_zero 0
	.end_amdhsa_kernel
	.section	.text._Z6kernelI18blocked_to_stripedxLj256ELj7ELj100EEvPKT0_PKjPS1_,"axG",@progbits,_Z6kernelI18blocked_to_stripedxLj256ELj7ELj100EEvPKT0_PKjPS1_,comdat
.Lfunc_end16:
	.size	_Z6kernelI18blocked_to_stripedxLj256ELj7ELj100EEvPKT0_PKjPS1_, .Lfunc_end16-_Z6kernelI18blocked_to_stripedxLj256ELj7ELj100EEvPKT0_PKjPS1_
                                        ; -- End function
	.set _Z6kernelI18blocked_to_stripedxLj256ELj7ELj100EEvPKT0_PKjPS1_.num_vgpr, 17
	.set _Z6kernelI18blocked_to_stripedxLj256ELj7ELj100EEvPKT0_PKjPS1_.num_agpr, 0
	.set _Z6kernelI18blocked_to_stripedxLj256ELj7ELj100EEvPKT0_PKjPS1_.numbered_sgpr, 7
	.set _Z6kernelI18blocked_to_stripedxLj256ELj7ELj100EEvPKT0_PKjPS1_.num_named_barrier, 0
	.set _Z6kernelI18blocked_to_stripedxLj256ELj7ELj100EEvPKT0_PKjPS1_.private_seg_size, 0
	.set _Z6kernelI18blocked_to_stripedxLj256ELj7ELj100EEvPKT0_PKjPS1_.uses_vcc, 0
	.set _Z6kernelI18blocked_to_stripedxLj256ELj7ELj100EEvPKT0_PKjPS1_.uses_flat_scratch, 0
	.set _Z6kernelI18blocked_to_stripedxLj256ELj7ELj100EEvPKT0_PKjPS1_.has_dyn_sized_stack, 0
	.set _Z6kernelI18blocked_to_stripedxLj256ELj7ELj100EEvPKT0_PKjPS1_.has_recursion, 0
	.set _Z6kernelI18blocked_to_stripedxLj256ELj7ELj100EEvPKT0_PKjPS1_.has_indirect_call, 0
	.section	.AMDGPU.csdata,"",@progbits
; Kernel info:
; codeLenInByte = 364
; TotalNumSgprs: 7
; NumVgprs: 17
; ScratchSize: 0
; MemoryBound: 1
; FloatMode: 240
; IeeeMode: 1
; LDSByteSize: 14336 bytes/workgroup (compile time only)
; SGPRBlocks: 0
; VGPRBlocks: 1
; NumSGPRsForWavesPerEU: 7
; NumVGPRsForWavesPerEU: 17
; NamedBarCnt: 0
; Occupancy: 16
; WaveLimiterHint : 1
; COMPUTE_PGM_RSRC2:SCRATCH_EN: 0
; COMPUTE_PGM_RSRC2:USER_SGPR: 2
; COMPUTE_PGM_RSRC2:TRAP_HANDLER: 0
; COMPUTE_PGM_RSRC2:TGID_X_EN: 1
; COMPUTE_PGM_RSRC2:TGID_Y_EN: 0
; COMPUTE_PGM_RSRC2:TGID_Z_EN: 0
; COMPUTE_PGM_RSRC2:TIDIG_COMP_CNT: 0
	.section	.text._Z6kernelI18blocked_to_stripedxLj256ELj8ELj100EEvPKT0_PKjPS1_,"axG",@progbits,_Z6kernelI18blocked_to_stripedxLj256ELj8ELj100EEvPKT0_PKjPS1_,comdat
	.protected	_Z6kernelI18blocked_to_stripedxLj256ELj8ELj100EEvPKT0_PKjPS1_ ; -- Begin function _Z6kernelI18blocked_to_stripedxLj256ELj8ELj100EEvPKT0_PKjPS1_
	.globl	_Z6kernelI18blocked_to_stripedxLj256ELj8ELj100EEvPKT0_PKjPS1_
	.p2align	8
	.type	_Z6kernelI18blocked_to_stripedxLj256ELj8ELj100EEvPKT0_PKjPS1_,@function
_Z6kernelI18blocked_to_stripedxLj256ELj8ELj100EEvPKT0_PKjPS1_: ; @_Z6kernelI18blocked_to_stripedxLj256ELj8ELj100EEvPKT0_PKjPS1_
; %bb.0:
	s_load_b64 s[4:5], s[0:1], 0x0
	s_bfe_u32 s2, ttmp6, 0x4000c
	s_and_b32 s3, ttmp6, 15
	s_add_co_i32 s2, s2, 1
	s_getreg_b32 s6, hwreg(HW_REG_IB_STS2, 6, 4)
	s_mul_i32 s2, ttmp9, s2
	v_dual_lshlrev_b32 v1, 6, v0 :: v_dual_lshrrev_b32 v20, 2, v0
	s_add_co_i32 s3, s3, s2
	s_cmp_eq_u32 s6, 0
	v_or_b32_e32 v18, 0x100, v0
	s_cselect_b32 s2, ttmp9, s3
	s_mov_b32 s3, 0
	s_lshl_b32 s2, s2, 11
	v_or_b32_e32 v19, 0x200, v0
	s_lshl_b64 s[2:3], s[2:3], 3
	v_dual_lshrrev_b32 v18, 2, v18 :: v_dual_lshlrev_b32 v25, 3, v0
	v_or_b32_e32 v24, 0x600, v0
	s_delay_alu instid0(VALU_DEP_3)
	v_lshrrev_b32_e32 v19, 2, v19
	s_wait_kmcnt 0x0
	s_add_nc_u64 s[4:5], s[4:5], s[2:3]
	v_and_b32_e32 v22, 0x78, v18
	s_clause 0x3
	global_load_b128 v[2:5], v1, s[4:5] offset:48
	global_load_b128 v[6:9], v1, s[4:5] offset:32
	global_load_b128 v[10:13], v1, s[4:5] offset:16
	global_load_b128 v[14:17], v1, s[4:5]
	v_and_b32_e32 v21, 56, v20
	v_and_b32_e32 v23, 0xb8, v19
	s_wait_xcnt 0x0
	v_lshl_add_u32 v1, v20, 3, v1
	v_or_b32_e32 v26, 0x700, v0
	v_dual_lshrrev_b32 v24, 2, v24 :: v_dual_add_nc_u32 v18, v21, v25
	v_or_b32_e32 v21, 0x300, v0
	s_movk_i32 s4, 0x64
	s_delay_alu instid0(VALU_DEP_3) | instskip(NEXT) | instid1(VALU_DEP_3)
	v_lshrrev_b32_e32 v26, 2, v26
	v_and_b32_e32 v24, 0x1b8, v24
	s_delay_alu instid0(VALU_DEP_3) | instskip(SKIP_3) | instid1(VALU_DEP_4)
	v_lshrrev_b32_e32 v21, 2, v21
	v_dual_add_nc_u32 v19, v22, v25 :: v_dual_add_nc_u32 v20, v23, v25
	v_or_b32_e32 v22, 0x400, v0
	v_or_b32_e32 v23, 0x500, v0
	v_and_b32_e32 v21, 0xf8, v21
	v_and_b32_e32 v26, 0x1f8, v26
	s_delay_alu instid0(VALU_DEP_4) | instskip(NEXT) | instid1(VALU_DEP_4)
	v_dual_add_nc_u32 v24, v24, v25 :: v_dual_lshrrev_b32 v22, 2, v22
	v_lshrrev_b32_e32 v23, 2, v23
	s_delay_alu instid0(VALU_DEP_2) | instskip(NEXT) | instid1(VALU_DEP_2)
	v_and_b32_e32 v22, 0x138, v22
	v_and_b32_e32 v23, 0x178, v23
	s_delay_alu instid0(VALU_DEP_2) | instskip(NEXT) | instid1(VALU_DEP_2)
	v_dual_add_nc_u32 v21, v21, v25 :: v_dual_add_nc_u32 v22, v22, v25
	v_dual_add_nc_u32 v23, v23, v25 :: v_dual_add_nc_u32 v25, v26, v25
.LBB17_1:                               ; =>This Inner Loop Header: Depth=1
	s_wait_loadcnt 0x0
	ds_store_2addr_b64 v1, v[14:15], v[16:17] offset1:1
	ds_store_2addr_b64 v1, v[10:11], v[12:13] offset0:2 offset1:3
	ds_store_2addr_b64 v1, v[6:7], v[8:9] offset0:4 offset1:5
	;; [unrolled: 1-line block ×3, first 2 shown]
	s_wait_dscnt 0x0
	s_barrier_signal -1
	s_barrier_wait -1
	ds_load_b64 v[14:15], v18
	ds_load_b64 v[16:17], v19 offset:2048
	ds_load_b64 v[10:11], v20 offset:4096
	;; [unrolled: 1-line block ×7, first 2 shown]
	s_add_co_i32 s4, s4, -1
	s_wait_dscnt 0x0
	s_cmp_lg_u32 s4, 0
	s_barrier_signal -1
	s_barrier_wait -1
	s_cbranch_scc1 .LBB17_1
; %bb.2:
	s_load_b64 s[0:1], s[0:1], 0x10
	s_wait_kmcnt 0x0
	s_add_nc_u64 s[0:1], s[0:1], s[2:3]
	s_clause 0x7
	global_store_b64 v0, v[14:15], s[0:1] scale_offset
	global_store_b64 v0, v[16:17], s[0:1] offset:2048 scale_offset
	global_store_b64 v0, v[10:11], s[0:1] offset:4096 scale_offset
	global_store_b64 v0, v[12:13], s[0:1] offset:6144 scale_offset
	global_store_b64 v0, v[6:7], s[0:1] offset:8192 scale_offset
	global_store_b64 v0, v[8:9], s[0:1] offset:10240 scale_offset
	global_store_b64 v0, v[2:3], s[0:1] offset:12288 scale_offset
	global_store_b64 v0, v[4:5], s[0:1] offset:14336 scale_offset
	s_endpgm
	.section	.rodata,"a",@progbits
	.p2align	6, 0x0
	.amdhsa_kernel _Z6kernelI18blocked_to_stripedxLj256ELj8ELj100EEvPKT0_PKjPS1_
		.amdhsa_group_segment_fixed_size 16896
		.amdhsa_private_segment_fixed_size 0
		.amdhsa_kernarg_size 24
		.amdhsa_user_sgpr_count 2
		.amdhsa_user_sgpr_dispatch_ptr 0
		.amdhsa_user_sgpr_queue_ptr 0
		.amdhsa_user_sgpr_kernarg_segment_ptr 1
		.amdhsa_user_sgpr_dispatch_id 0
		.amdhsa_user_sgpr_kernarg_preload_length 0
		.amdhsa_user_sgpr_kernarg_preload_offset 0
		.amdhsa_user_sgpr_private_segment_size 0
		.amdhsa_wavefront_size32 1
		.amdhsa_uses_dynamic_stack 0
		.amdhsa_enable_private_segment 0
		.amdhsa_system_sgpr_workgroup_id_x 1
		.amdhsa_system_sgpr_workgroup_id_y 0
		.amdhsa_system_sgpr_workgroup_id_z 0
		.amdhsa_system_sgpr_workgroup_info 0
		.amdhsa_system_vgpr_workitem_id 0
		.amdhsa_next_free_vgpr 27
		.amdhsa_next_free_sgpr 7
		.amdhsa_named_barrier_count 0
		.amdhsa_reserve_vcc 0
		.amdhsa_float_round_mode_32 0
		.amdhsa_float_round_mode_16_64 0
		.amdhsa_float_denorm_mode_32 3
		.amdhsa_float_denorm_mode_16_64 3
		.amdhsa_fp16_overflow 0
		.amdhsa_memory_ordered 1
		.amdhsa_forward_progress 1
		.amdhsa_inst_pref_size 5
		.amdhsa_round_robin_scheduling 0
		.amdhsa_exception_fp_ieee_invalid_op 0
		.amdhsa_exception_fp_denorm_src 0
		.amdhsa_exception_fp_ieee_div_zero 0
		.amdhsa_exception_fp_ieee_overflow 0
		.amdhsa_exception_fp_ieee_underflow 0
		.amdhsa_exception_fp_ieee_inexact 0
		.amdhsa_exception_int_div_zero 0
	.end_amdhsa_kernel
	.section	.text._Z6kernelI18blocked_to_stripedxLj256ELj8ELj100EEvPKT0_PKjPS1_,"axG",@progbits,_Z6kernelI18blocked_to_stripedxLj256ELj8ELj100EEvPKT0_PKjPS1_,comdat
.Lfunc_end17:
	.size	_Z6kernelI18blocked_to_stripedxLj256ELj8ELj100EEvPKT0_PKjPS1_, .Lfunc_end17-_Z6kernelI18blocked_to_stripedxLj256ELj8ELj100EEvPKT0_PKjPS1_
                                        ; -- End function
	.set _Z6kernelI18blocked_to_stripedxLj256ELj8ELj100EEvPKT0_PKjPS1_.num_vgpr, 27
	.set _Z6kernelI18blocked_to_stripedxLj256ELj8ELj100EEvPKT0_PKjPS1_.num_agpr, 0
	.set _Z6kernelI18blocked_to_stripedxLj256ELj8ELj100EEvPKT0_PKjPS1_.numbered_sgpr, 7
	.set _Z6kernelI18blocked_to_stripedxLj256ELj8ELj100EEvPKT0_PKjPS1_.num_named_barrier, 0
	.set _Z6kernelI18blocked_to_stripedxLj256ELj8ELj100EEvPKT0_PKjPS1_.private_seg_size, 0
	.set _Z6kernelI18blocked_to_stripedxLj256ELj8ELj100EEvPKT0_PKjPS1_.uses_vcc, 0
	.set _Z6kernelI18blocked_to_stripedxLj256ELj8ELj100EEvPKT0_PKjPS1_.uses_flat_scratch, 0
	.set _Z6kernelI18blocked_to_stripedxLj256ELj8ELj100EEvPKT0_PKjPS1_.has_dyn_sized_stack, 0
	.set _Z6kernelI18blocked_to_stripedxLj256ELj8ELj100EEvPKT0_PKjPS1_.has_recursion, 0
	.set _Z6kernelI18blocked_to_stripedxLj256ELj8ELj100EEvPKT0_PKjPS1_.has_indirect_call, 0
	.section	.AMDGPU.csdata,"",@progbits
; Kernel info:
; codeLenInByte = 628
; TotalNumSgprs: 7
; NumVgprs: 27
; ScratchSize: 0
; MemoryBound: 0
; FloatMode: 240
; IeeeMode: 1
; LDSByteSize: 16896 bytes/workgroup (compile time only)
; SGPRBlocks: 0
; VGPRBlocks: 1
; NumSGPRsForWavesPerEU: 7
; NumVGPRsForWavesPerEU: 27
; NamedBarCnt: 0
; Occupancy: 16
; WaveLimiterHint : 1
; COMPUTE_PGM_RSRC2:SCRATCH_EN: 0
; COMPUTE_PGM_RSRC2:USER_SGPR: 2
; COMPUTE_PGM_RSRC2:TRAP_HANDLER: 0
; COMPUTE_PGM_RSRC2:TGID_X_EN: 1
; COMPUTE_PGM_RSRC2:TGID_Y_EN: 0
; COMPUTE_PGM_RSRC2:TGID_Z_EN: 0
; COMPUTE_PGM_RSRC2:TIDIG_COMP_CNT: 0
	.section	.text._Z6kernelI18blocked_to_stripedN15benchmark_utils11custom_typeIffEELj256ELj1ELj100EEvPKT0_PKjPS4_,"axG",@progbits,_Z6kernelI18blocked_to_stripedN15benchmark_utils11custom_typeIffEELj256ELj1ELj100EEvPKT0_PKjPS4_,comdat
	.protected	_Z6kernelI18blocked_to_stripedN15benchmark_utils11custom_typeIffEELj256ELj1ELj100EEvPKT0_PKjPS4_ ; -- Begin function _Z6kernelI18blocked_to_stripedN15benchmark_utils11custom_typeIffEELj256ELj1ELj100EEvPKT0_PKjPS4_
	.globl	_Z6kernelI18blocked_to_stripedN15benchmark_utils11custom_typeIffEELj256ELj1ELj100EEvPKT0_PKjPS4_
	.p2align	8
	.type	_Z6kernelI18blocked_to_stripedN15benchmark_utils11custom_typeIffEELj256ELj1ELj100EEvPKT0_PKjPS4_,@function
_Z6kernelI18blocked_to_stripedN15benchmark_utils11custom_typeIffEELj256ELj1ELj100EEvPKT0_PKjPS4_: ; @_Z6kernelI18blocked_to_stripedN15benchmark_utils11custom_typeIffEELj256ELj1ELj100EEvPKT0_PKjPS4_
; %bb.0:
	s_load_b64 s[4:5], s[0:1], 0x0
	s_bfe_u32 s2, ttmp6, 0x4000c
	s_and_b32 s3, ttmp6, 15
	s_add_co_i32 s2, s2, 1
	s_getreg_b32 s6, hwreg(HW_REG_IB_STS2, 6, 4)
	s_mul_i32 s2, ttmp9, s2
	v_lshlrev_b32_e32 v1, 3, v0
	s_add_co_i32 s3, s3, s2
	s_cmp_eq_u32 s6, 0
	s_cselect_b32 s2, ttmp9, s3
	s_mov_b32 s3, 0
	s_lshl_b32 s2, s2, 8
	s_delay_alu instid0(SALU_CYCLE_1)
	s_lshl_b64 s[2:3], s[2:3], 3
	s_wait_kmcnt 0x0
	s_add_nc_u64 s[4:5], s[4:5], s[2:3]
	global_load_b64 v[2:3], v0, s[4:5] scale_offset
	s_wait_xcnt 0x0
	s_movk_i32 s4, 0x64
.LBB18_1:                               ; =>This Inner Loop Header: Depth=1
	s_wait_loadcnt 0x0
	ds_store_b64 v1, v[2:3]
	s_wait_dscnt 0x0
	s_barrier_signal -1
	s_barrier_wait -1
	ds_load_b64 v[2:3], v1
	s_add_co_i32 s4, s4, -1
	s_wait_dscnt 0x0
	s_cmp_lg_u32 s4, 0
	s_barrier_signal -1
	s_barrier_wait -1
	s_cbranch_scc1 .LBB18_1
; %bb.2:
	s_load_b64 s[0:1], s[0:1], 0x10
	s_wait_kmcnt 0x0
	s_add_nc_u64 s[0:1], s[0:1], s[2:3]
	global_store_b64 v0, v[2:3], s[0:1] scale_offset
	s_endpgm
	.section	.rodata,"a",@progbits
	.p2align	6, 0x0
	.amdhsa_kernel _Z6kernelI18blocked_to_stripedN15benchmark_utils11custom_typeIffEELj256ELj1ELj100EEvPKT0_PKjPS4_
		.amdhsa_group_segment_fixed_size 2048
		.amdhsa_private_segment_fixed_size 0
		.amdhsa_kernarg_size 24
		.amdhsa_user_sgpr_count 2
		.amdhsa_user_sgpr_dispatch_ptr 0
		.amdhsa_user_sgpr_queue_ptr 0
		.amdhsa_user_sgpr_kernarg_segment_ptr 1
		.amdhsa_user_sgpr_dispatch_id 0
		.amdhsa_user_sgpr_kernarg_preload_length 0
		.amdhsa_user_sgpr_kernarg_preload_offset 0
		.amdhsa_user_sgpr_private_segment_size 0
		.amdhsa_wavefront_size32 1
		.amdhsa_uses_dynamic_stack 0
		.amdhsa_enable_private_segment 0
		.amdhsa_system_sgpr_workgroup_id_x 1
		.amdhsa_system_sgpr_workgroup_id_y 0
		.amdhsa_system_sgpr_workgroup_id_z 0
		.amdhsa_system_sgpr_workgroup_info 0
		.amdhsa_system_vgpr_workitem_id 0
		.amdhsa_next_free_vgpr 4
		.amdhsa_next_free_sgpr 7
		.amdhsa_named_barrier_count 0
		.amdhsa_reserve_vcc 0
		.amdhsa_float_round_mode_32 0
		.amdhsa_float_round_mode_16_64 0
		.amdhsa_float_denorm_mode_32 3
		.amdhsa_float_denorm_mode_16_64 3
		.amdhsa_fp16_overflow 0
		.amdhsa_memory_ordered 1
		.amdhsa_forward_progress 1
		.amdhsa_inst_pref_size 2
		.amdhsa_round_robin_scheduling 0
		.amdhsa_exception_fp_ieee_invalid_op 0
		.amdhsa_exception_fp_denorm_src 0
		.amdhsa_exception_fp_ieee_div_zero 0
		.amdhsa_exception_fp_ieee_overflow 0
		.amdhsa_exception_fp_ieee_underflow 0
		.amdhsa_exception_fp_ieee_inexact 0
		.amdhsa_exception_int_div_zero 0
	.end_amdhsa_kernel
	.section	.text._Z6kernelI18blocked_to_stripedN15benchmark_utils11custom_typeIffEELj256ELj1ELj100EEvPKT0_PKjPS4_,"axG",@progbits,_Z6kernelI18blocked_to_stripedN15benchmark_utils11custom_typeIffEELj256ELj1ELj100EEvPKT0_PKjPS4_,comdat
.Lfunc_end18:
	.size	_Z6kernelI18blocked_to_stripedN15benchmark_utils11custom_typeIffEELj256ELj1ELj100EEvPKT0_PKjPS4_, .Lfunc_end18-_Z6kernelI18blocked_to_stripedN15benchmark_utils11custom_typeIffEELj256ELj1ELj100EEvPKT0_PKjPS4_
                                        ; -- End function
	.set _Z6kernelI18blocked_to_stripedN15benchmark_utils11custom_typeIffEELj256ELj1ELj100EEvPKT0_PKjPS4_.num_vgpr, 4
	.set _Z6kernelI18blocked_to_stripedN15benchmark_utils11custom_typeIffEELj256ELj1ELj100EEvPKT0_PKjPS4_.num_agpr, 0
	.set _Z6kernelI18blocked_to_stripedN15benchmark_utils11custom_typeIffEELj256ELj1ELj100EEvPKT0_PKjPS4_.numbered_sgpr, 7
	.set _Z6kernelI18blocked_to_stripedN15benchmark_utils11custom_typeIffEELj256ELj1ELj100EEvPKT0_PKjPS4_.num_named_barrier, 0
	.set _Z6kernelI18blocked_to_stripedN15benchmark_utils11custom_typeIffEELj256ELj1ELj100EEvPKT0_PKjPS4_.private_seg_size, 0
	.set _Z6kernelI18blocked_to_stripedN15benchmark_utils11custom_typeIffEELj256ELj1ELj100EEvPKT0_PKjPS4_.uses_vcc, 0
	.set _Z6kernelI18blocked_to_stripedN15benchmark_utils11custom_typeIffEELj256ELj1ELj100EEvPKT0_PKjPS4_.uses_flat_scratch, 0
	.set _Z6kernelI18blocked_to_stripedN15benchmark_utils11custom_typeIffEELj256ELj1ELj100EEvPKT0_PKjPS4_.has_dyn_sized_stack, 0
	.set _Z6kernelI18blocked_to_stripedN15benchmark_utils11custom_typeIffEELj256ELj1ELj100EEvPKT0_PKjPS4_.has_recursion, 0
	.set _Z6kernelI18blocked_to_stripedN15benchmark_utils11custom_typeIffEELj256ELj1ELj100EEvPKT0_PKjPS4_.has_indirect_call, 0
	.section	.AMDGPU.csdata,"",@progbits
; Kernel info:
; codeLenInByte = 180
; TotalNumSgprs: 7
; NumVgprs: 4
; ScratchSize: 0
; MemoryBound: 0
; FloatMode: 240
; IeeeMode: 1
; LDSByteSize: 2048 bytes/workgroup (compile time only)
; SGPRBlocks: 0
; VGPRBlocks: 0
; NumSGPRsForWavesPerEU: 7
; NumVGPRsForWavesPerEU: 4
; NamedBarCnt: 0
; Occupancy: 16
; WaveLimiterHint : 0
; COMPUTE_PGM_RSRC2:SCRATCH_EN: 0
; COMPUTE_PGM_RSRC2:USER_SGPR: 2
; COMPUTE_PGM_RSRC2:TRAP_HANDLER: 0
; COMPUTE_PGM_RSRC2:TGID_X_EN: 1
; COMPUTE_PGM_RSRC2:TGID_Y_EN: 0
; COMPUTE_PGM_RSRC2:TGID_Z_EN: 0
; COMPUTE_PGM_RSRC2:TIDIG_COMP_CNT: 0
	.section	.text._Z6kernelI18blocked_to_stripedN15benchmark_utils11custom_typeIffEELj256ELj2ELj100EEvPKT0_PKjPS4_,"axG",@progbits,_Z6kernelI18blocked_to_stripedN15benchmark_utils11custom_typeIffEELj256ELj2ELj100EEvPKT0_PKjPS4_,comdat
	.protected	_Z6kernelI18blocked_to_stripedN15benchmark_utils11custom_typeIffEELj256ELj2ELj100EEvPKT0_PKjPS4_ ; -- Begin function _Z6kernelI18blocked_to_stripedN15benchmark_utils11custom_typeIffEELj256ELj2ELj100EEvPKT0_PKjPS4_
	.globl	_Z6kernelI18blocked_to_stripedN15benchmark_utils11custom_typeIffEELj256ELj2ELj100EEvPKT0_PKjPS4_
	.p2align	8
	.type	_Z6kernelI18blocked_to_stripedN15benchmark_utils11custom_typeIffEELj256ELj2ELj100EEvPKT0_PKjPS4_,@function
_Z6kernelI18blocked_to_stripedN15benchmark_utils11custom_typeIffEELj256ELj2ELj100EEvPKT0_PKjPS4_: ; @_Z6kernelI18blocked_to_stripedN15benchmark_utils11custom_typeIffEELj256ELj2ELj100EEvPKT0_PKjPS4_
; %bb.0:
	s_load_b64 s[4:5], s[0:1], 0x0
	s_bfe_u32 s2, ttmp6, 0x4000c
	s_and_b32 s3, ttmp6, 15
	s_add_co_i32 s2, s2, 1
	s_getreg_b32 s6, hwreg(HW_REG_IB_STS2, 6, 4)
	s_mul_i32 s2, ttmp9, s2
	v_or_b32_e32 v1, 0x100, v0
	s_add_co_i32 s3, s3, s2
	s_cmp_eq_u32 s6, 0
	v_dual_lshrrev_b32 v6, 1, v0 :: v_dual_lshrrev_b32 v7, 2, v0
	s_cselect_b32 s2, ttmp9, s3
	s_mov_b32 s3, 0
	s_lshl_b32 s2, s2, 9
	s_delay_alu instid0(VALU_DEP_1) | instskip(SKIP_3) | instid1(VALU_DEP_3)
	v_dual_lshrrev_b32 v1, 2, v1 :: v_dual_bitop2_b32 v7, 56, v7 bitop3:0x40
	s_lshl_b64 s[2:3], s[2:3], 3
	v_and_b32_e32 v6, 0x78, v6
	v_lshlrev_b32_e32 v8, 3, v0
	v_and_b32_e32 v9, 0x78, v1
	s_wait_kmcnt 0x0
	s_add_nc_u64 s[4:5], s[4:5], s[2:3]
	v_lshl_add_u32 v1, v0, 4, v6
	global_load_b128 v[2:5], v0, s[4:5] scale_offset
	v_dual_add_nc_u32 v6, v7, v8 :: v_dual_add_nc_u32 v7, v9, v8
	s_wait_xcnt 0x0
	s_movk_i32 s4, 0x64
.LBB19_1:                               ; =>This Inner Loop Header: Depth=1
	s_wait_loadcnt 0x0
	ds_store_2addr_b64 v1, v[2:3], v[4:5] offset1:1
	s_wait_dscnt 0x0
	s_barrier_signal -1
	s_barrier_wait -1
	ds_load_b64 v[2:3], v6
	ds_load_b64 v[4:5], v7 offset:2048
	s_add_co_i32 s4, s4, -1
	s_wait_dscnt 0x0
	s_cmp_lg_u32 s4, 0
	s_barrier_signal -1
	s_barrier_wait -1
	s_cbranch_scc1 .LBB19_1
; %bb.2:
	s_load_b64 s[0:1], s[0:1], 0x10
	s_wait_kmcnt 0x0
	s_add_nc_u64 s[0:1], s[0:1], s[2:3]
	s_clause 0x1
	global_store_b64 v0, v[2:3], s[0:1] scale_offset
	global_store_b64 v0, v[4:5], s[0:1] offset:2048 scale_offset
	s_endpgm
	.section	.rodata,"a",@progbits
	.p2align	6, 0x0
	.amdhsa_kernel _Z6kernelI18blocked_to_stripedN15benchmark_utils11custom_typeIffEELj256ELj2ELj100EEvPKT0_PKjPS4_
		.amdhsa_group_segment_fixed_size 4224
		.amdhsa_private_segment_fixed_size 0
		.amdhsa_kernarg_size 24
		.amdhsa_user_sgpr_count 2
		.amdhsa_user_sgpr_dispatch_ptr 0
		.amdhsa_user_sgpr_queue_ptr 0
		.amdhsa_user_sgpr_kernarg_segment_ptr 1
		.amdhsa_user_sgpr_dispatch_id 0
		.amdhsa_user_sgpr_kernarg_preload_length 0
		.amdhsa_user_sgpr_kernarg_preload_offset 0
		.amdhsa_user_sgpr_private_segment_size 0
		.amdhsa_wavefront_size32 1
		.amdhsa_uses_dynamic_stack 0
		.amdhsa_enable_private_segment 0
		.amdhsa_system_sgpr_workgroup_id_x 1
		.amdhsa_system_sgpr_workgroup_id_y 0
		.amdhsa_system_sgpr_workgroup_id_z 0
		.amdhsa_system_sgpr_workgroup_info 0
		.amdhsa_system_vgpr_workitem_id 0
		.amdhsa_next_free_vgpr 10
		.amdhsa_next_free_sgpr 7
		.amdhsa_named_barrier_count 0
		.amdhsa_reserve_vcc 0
		.amdhsa_float_round_mode_32 0
		.amdhsa_float_round_mode_16_64 0
		.amdhsa_float_denorm_mode_32 3
		.amdhsa_float_denorm_mode_16_64 3
		.amdhsa_fp16_overflow 0
		.amdhsa_memory_ordered 1
		.amdhsa_forward_progress 1
		.amdhsa_inst_pref_size 3
		.amdhsa_round_robin_scheduling 0
		.amdhsa_exception_fp_ieee_invalid_op 0
		.amdhsa_exception_fp_denorm_src 0
		.amdhsa_exception_fp_ieee_div_zero 0
		.amdhsa_exception_fp_ieee_overflow 0
		.amdhsa_exception_fp_ieee_underflow 0
		.amdhsa_exception_fp_ieee_inexact 0
		.amdhsa_exception_int_div_zero 0
	.end_amdhsa_kernel
	.section	.text._Z6kernelI18blocked_to_stripedN15benchmark_utils11custom_typeIffEELj256ELj2ELj100EEvPKT0_PKjPS4_,"axG",@progbits,_Z6kernelI18blocked_to_stripedN15benchmark_utils11custom_typeIffEELj256ELj2ELj100EEvPKT0_PKjPS4_,comdat
.Lfunc_end19:
	.size	_Z6kernelI18blocked_to_stripedN15benchmark_utils11custom_typeIffEELj256ELj2ELj100EEvPKT0_PKjPS4_, .Lfunc_end19-_Z6kernelI18blocked_to_stripedN15benchmark_utils11custom_typeIffEELj256ELj2ELj100EEvPKT0_PKjPS4_
                                        ; -- End function
	.set _Z6kernelI18blocked_to_stripedN15benchmark_utils11custom_typeIffEELj256ELj2ELj100EEvPKT0_PKjPS4_.num_vgpr, 10
	.set _Z6kernelI18blocked_to_stripedN15benchmark_utils11custom_typeIffEELj256ELj2ELj100EEvPKT0_PKjPS4_.num_agpr, 0
	.set _Z6kernelI18blocked_to_stripedN15benchmark_utils11custom_typeIffEELj256ELj2ELj100EEvPKT0_PKjPS4_.numbered_sgpr, 7
	.set _Z6kernelI18blocked_to_stripedN15benchmark_utils11custom_typeIffEELj256ELj2ELj100EEvPKT0_PKjPS4_.num_named_barrier, 0
	.set _Z6kernelI18blocked_to_stripedN15benchmark_utils11custom_typeIffEELj256ELj2ELj100EEvPKT0_PKjPS4_.private_seg_size, 0
	.set _Z6kernelI18blocked_to_stripedN15benchmark_utils11custom_typeIffEELj256ELj2ELj100EEvPKT0_PKjPS4_.uses_vcc, 0
	.set _Z6kernelI18blocked_to_stripedN15benchmark_utils11custom_typeIffEELj256ELj2ELj100EEvPKT0_PKjPS4_.uses_flat_scratch, 0
	.set _Z6kernelI18blocked_to_stripedN15benchmark_utils11custom_typeIffEELj256ELj2ELj100EEvPKT0_PKjPS4_.has_dyn_sized_stack, 0
	.set _Z6kernelI18blocked_to_stripedN15benchmark_utils11custom_typeIffEELj256ELj2ELj100EEvPKT0_PKjPS4_.has_recursion, 0
	.set _Z6kernelI18blocked_to_stripedN15benchmark_utils11custom_typeIffEELj256ELj2ELj100EEvPKT0_PKjPS4_.has_indirect_call, 0
	.section	.AMDGPU.csdata,"",@progbits
; Kernel info:
; codeLenInByte = 272
; TotalNumSgprs: 7
; NumVgprs: 10
; ScratchSize: 0
; MemoryBound: 0
; FloatMode: 240
; IeeeMode: 1
; LDSByteSize: 4224 bytes/workgroup (compile time only)
; SGPRBlocks: 0
; VGPRBlocks: 0
; NumSGPRsForWavesPerEU: 7
; NumVGPRsForWavesPerEU: 10
; NamedBarCnt: 0
; Occupancy: 16
; WaveLimiterHint : 1
; COMPUTE_PGM_RSRC2:SCRATCH_EN: 0
; COMPUTE_PGM_RSRC2:USER_SGPR: 2
; COMPUTE_PGM_RSRC2:TRAP_HANDLER: 0
; COMPUTE_PGM_RSRC2:TGID_X_EN: 1
; COMPUTE_PGM_RSRC2:TGID_Y_EN: 0
; COMPUTE_PGM_RSRC2:TGID_Z_EN: 0
; COMPUTE_PGM_RSRC2:TIDIG_COMP_CNT: 0
	.section	.text._Z6kernelI18blocked_to_stripedN15benchmark_utils11custom_typeIffEELj256ELj3ELj100EEvPKT0_PKjPS4_,"axG",@progbits,_Z6kernelI18blocked_to_stripedN15benchmark_utils11custom_typeIffEELj256ELj3ELj100EEvPKT0_PKjPS4_,comdat
	.protected	_Z6kernelI18blocked_to_stripedN15benchmark_utils11custom_typeIffEELj256ELj3ELj100EEvPKT0_PKjPS4_ ; -- Begin function _Z6kernelI18blocked_to_stripedN15benchmark_utils11custom_typeIffEELj256ELj3ELj100EEvPKT0_PKjPS4_
	.globl	_Z6kernelI18blocked_to_stripedN15benchmark_utils11custom_typeIffEELj256ELj3ELj100EEvPKT0_PKjPS4_
	.p2align	8
	.type	_Z6kernelI18blocked_to_stripedN15benchmark_utils11custom_typeIffEELj256ELj3ELj100EEvPKT0_PKjPS4_,@function
_Z6kernelI18blocked_to_stripedN15benchmark_utils11custom_typeIffEELj256ELj3ELj100EEvPKT0_PKjPS4_: ; @_Z6kernelI18blocked_to_stripedN15benchmark_utils11custom_typeIffEELj256ELj3ELj100EEvPKT0_PKjPS4_
; %bb.0:
	s_load_b64 s[4:5], s[0:1], 0x0
	s_bfe_u32 s2, ttmp6, 0x4000c
	s_and_b32 s3, ttmp6, 15
	s_add_co_i32 s2, s2, 1
	s_getreg_b32 s6, hwreg(HW_REG_IB_STS2, 6, 4)
	s_mul_i32 s2, ttmp9, s2
	v_mul_u32_u24_e32 v8, 3, v0
	s_add_co_i32 s3, s3, s2
	s_cmp_eq_u32 s6, 0
	s_cselect_b32 s2, ttmp9, s3
	s_mov_b32 s3, 0
	s_mulk_i32 s2, 0x300
	v_lshlrev_b32_e32 v1, 3, v8
	s_lshl_b64 s[2:3], s[2:3], 3
	s_wait_kmcnt 0x0
	s_add_nc_u64 s[4:5], s[4:5], s[2:3]
	s_clause 0x1
	global_load_b64 v[6:7], v8, s[4:5] offset:16 scale_offset
	global_load_b128 v[2:5], v1, s[4:5]
	s_wait_xcnt 0x1
	v_lshlrev_b32_e32 v8, 4, v0
	s_wait_xcnt 0x0
	s_movk_i32 s4, 0x64
	s_delay_alu instid0(VALU_DEP_1) | instskip(NEXT) | instid1(VALU_DEP_1)
	v_sub_nc_u32_e32 v8, 0, v8
	v_add_nc_u32_e32 v8, v1, v8
.LBB20_1:                               ; =>This Inner Loop Header: Depth=1
	s_wait_loadcnt 0x0
	ds_store_2addr_b64 v1, v[2:3], v[4:5] offset1:1
	ds_store_b64 v1, v[6:7] offset:16
	s_wait_dscnt 0x0
	s_barrier_signal -1
	s_barrier_wait -1
	ds_load_2addr_stride64_b64 v[2:5], v8 offset1:4
	ds_load_b64 v[6:7], v8 offset:4096
	s_add_co_i32 s4, s4, -1
	s_wait_dscnt 0x0
	s_cmp_lg_u32 s4, 0
	s_barrier_signal -1
	s_barrier_wait -1
	s_cbranch_scc1 .LBB20_1
; %bb.2:
	s_load_b64 s[0:1], s[0:1], 0x10
	s_wait_kmcnt 0x0
	s_add_nc_u64 s[0:1], s[0:1], s[2:3]
	s_clause 0x2
	global_store_b64 v0, v[2:3], s[0:1] scale_offset
	global_store_b64 v0, v[4:5], s[0:1] offset:2048 scale_offset
	global_store_b64 v0, v[6:7], s[0:1] offset:4096 scale_offset
	s_endpgm
	.section	.rodata,"a",@progbits
	.p2align	6, 0x0
	.amdhsa_kernel _Z6kernelI18blocked_to_stripedN15benchmark_utils11custom_typeIffEELj256ELj3ELj100EEvPKT0_PKjPS4_
		.amdhsa_group_segment_fixed_size 6144
		.amdhsa_private_segment_fixed_size 0
		.amdhsa_kernarg_size 24
		.amdhsa_user_sgpr_count 2
		.amdhsa_user_sgpr_dispatch_ptr 0
		.amdhsa_user_sgpr_queue_ptr 0
		.amdhsa_user_sgpr_kernarg_segment_ptr 1
		.amdhsa_user_sgpr_dispatch_id 0
		.amdhsa_user_sgpr_kernarg_preload_length 0
		.amdhsa_user_sgpr_kernarg_preload_offset 0
		.amdhsa_user_sgpr_private_segment_size 0
		.amdhsa_wavefront_size32 1
		.amdhsa_uses_dynamic_stack 0
		.amdhsa_enable_private_segment 0
		.amdhsa_system_sgpr_workgroup_id_x 1
		.amdhsa_system_sgpr_workgroup_id_y 0
		.amdhsa_system_sgpr_workgroup_id_z 0
		.amdhsa_system_sgpr_workgroup_info 0
		.amdhsa_system_vgpr_workitem_id 0
		.amdhsa_next_free_vgpr 9
		.amdhsa_next_free_sgpr 7
		.amdhsa_named_barrier_count 0
		.amdhsa_reserve_vcc 0
		.amdhsa_float_round_mode_32 0
		.amdhsa_float_round_mode_16_64 0
		.amdhsa_float_denorm_mode_32 3
		.amdhsa_float_denorm_mode_16_64 3
		.amdhsa_fp16_overflow 0
		.amdhsa_memory_ordered 1
		.amdhsa_forward_progress 1
		.amdhsa_inst_pref_size 3
		.amdhsa_round_robin_scheduling 0
		.amdhsa_exception_fp_ieee_invalid_op 0
		.amdhsa_exception_fp_denorm_src 0
		.amdhsa_exception_fp_ieee_div_zero 0
		.amdhsa_exception_fp_ieee_overflow 0
		.amdhsa_exception_fp_ieee_underflow 0
		.amdhsa_exception_fp_ieee_inexact 0
		.amdhsa_exception_int_div_zero 0
	.end_amdhsa_kernel
	.section	.text._Z6kernelI18blocked_to_stripedN15benchmark_utils11custom_typeIffEELj256ELj3ELj100EEvPKT0_PKjPS4_,"axG",@progbits,_Z6kernelI18blocked_to_stripedN15benchmark_utils11custom_typeIffEELj256ELj3ELj100EEvPKT0_PKjPS4_,comdat
.Lfunc_end20:
	.size	_Z6kernelI18blocked_to_stripedN15benchmark_utils11custom_typeIffEELj256ELj3ELj100EEvPKT0_PKjPS4_, .Lfunc_end20-_Z6kernelI18blocked_to_stripedN15benchmark_utils11custom_typeIffEELj256ELj3ELj100EEvPKT0_PKjPS4_
                                        ; -- End function
	.set _Z6kernelI18blocked_to_stripedN15benchmark_utils11custom_typeIffEELj256ELj3ELj100EEvPKT0_PKjPS4_.num_vgpr, 9
	.set _Z6kernelI18blocked_to_stripedN15benchmark_utils11custom_typeIffEELj256ELj3ELj100EEvPKT0_PKjPS4_.num_agpr, 0
	.set _Z6kernelI18blocked_to_stripedN15benchmark_utils11custom_typeIffEELj256ELj3ELj100EEvPKT0_PKjPS4_.numbered_sgpr, 7
	.set _Z6kernelI18blocked_to_stripedN15benchmark_utils11custom_typeIffEELj256ELj3ELj100EEvPKT0_PKjPS4_.num_named_barrier, 0
	.set _Z6kernelI18blocked_to_stripedN15benchmark_utils11custom_typeIffEELj256ELj3ELj100EEvPKT0_PKjPS4_.private_seg_size, 0
	.set _Z6kernelI18blocked_to_stripedN15benchmark_utils11custom_typeIffEELj256ELj3ELj100EEvPKT0_PKjPS4_.uses_vcc, 0
	.set _Z6kernelI18blocked_to_stripedN15benchmark_utils11custom_typeIffEELj256ELj3ELj100EEvPKT0_PKjPS4_.uses_flat_scratch, 0
	.set _Z6kernelI18blocked_to_stripedN15benchmark_utils11custom_typeIffEELj256ELj3ELj100EEvPKT0_PKjPS4_.has_dyn_sized_stack, 0
	.set _Z6kernelI18blocked_to_stripedN15benchmark_utils11custom_typeIffEELj256ELj3ELj100EEvPKT0_PKjPS4_.has_recursion, 0
	.set _Z6kernelI18blocked_to_stripedN15benchmark_utils11custom_typeIffEELj256ELj3ELj100EEvPKT0_PKjPS4_.has_indirect_call, 0
	.section	.AMDGPU.csdata,"",@progbits
; Kernel info:
; codeLenInByte = 260
; TotalNumSgprs: 7
; NumVgprs: 9
; ScratchSize: 0
; MemoryBound: 0
; FloatMode: 240
; IeeeMode: 1
; LDSByteSize: 6144 bytes/workgroup (compile time only)
; SGPRBlocks: 0
; VGPRBlocks: 0
; NumSGPRsForWavesPerEU: 7
; NumVGPRsForWavesPerEU: 9
; NamedBarCnt: 0
; Occupancy: 16
; WaveLimiterHint : 1
; COMPUTE_PGM_RSRC2:SCRATCH_EN: 0
; COMPUTE_PGM_RSRC2:USER_SGPR: 2
; COMPUTE_PGM_RSRC2:TRAP_HANDLER: 0
; COMPUTE_PGM_RSRC2:TGID_X_EN: 1
; COMPUTE_PGM_RSRC2:TGID_Y_EN: 0
; COMPUTE_PGM_RSRC2:TGID_Z_EN: 0
; COMPUTE_PGM_RSRC2:TIDIG_COMP_CNT: 0
	.section	.text._Z6kernelI18blocked_to_stripedN15benchmark_utils11custom_typeIffEELj256ELj4ELj100EEvPKT0_PKjPS4_,"axG",@progbits,_Z6kernelI18blocked_to_stripedN15benchmark_utils11custom_typeIffEELj256ELj4ELj100EEvPKT0_PKjPS4_,comdat
	.protected	_Z6kernelI18blocked_to_stripedN15benchmark_utils11custom_typeIffEELj256ELj4ELj100EEvPKT0_PKjPS4_ ; -- Begin function _Z6kernelI18blocked_to_stripedN15benchmark_utils11custom_typeIffEELj256ELj4ELj100EEvPKT0_PKjPS4_
	.globl	_Z6kernelI18blocked_to_stripedN15benchmark_utils11custom_typeIffEELj256ELj4ELj100EEvPKT0_PKjPS4_
	.p2align	8
	.type	_Z6kernelI18blocked_to_stripedN15benchmark_utils11custom_typeIffEELj256ELj4ELj100EEvPKT0_PKjPS4_,@function
_Z6kernelI18blocked_to_stripedN15benchmark_utils11custom_typeIffEELj256ELj4ELj100EEvPKT0_PKjPS4_: ; @_Z6kernelI18blocked_to_stripedN15benchmark_utils11custom_typeIffEELj256ELj4ELj100EEvPKT0_PKjPS4_
; %bb.0:
	s_load_b64 s[4:5], s[0:1], 0x0
	s_bfe_u32 s2, ttmp6, 0x4000c
	s_and_b32 s3, ttmp6, 15
	s_add_co_i32 s2, s2, 1
	s_getreg_b32 s6, hwreg(HW_REG_IB_STS2, 6, 4)
	s_mul_i32 s2, ttmp9, s2
	v_dual_lshlrev_b32 v1, 5, v0 :: v_dual_lshrrev_b32 v13, 2, v0
	s_add_co_i32 s3, s3, s2
	s_cmp_eq_u32 s6, 0
	v_or_b32_e32 v10, 0x100, v0
	s_cselect_b32 s2, ttmp9, s3
	s_mov_b32 s3, 0
	s_lshl_b32 s2, s2, 10
	v_or_b32_e32 v11, 0x200, v0
	s_lshl_b64 s[2:3], s[2:3], 3
	v_or_b32_e32 v12, 0x300, v0
	v_lshrrev_b32_e32 v10, 2, v10
	v_and_b32_e32 v14, 0xf8, v0
	v_lshrrev_b32_e32 v11, 2, v11
	s_wait_kmcnt 0x0
	s_add_nc_u64 s[4:5], s[4:5], s[2:3]
	v_dual_lshrrev_b32 v12, 2, v12 :: v_dual_bitop2_b32 v13, 56, v13 bitop3:0x40
	s_clause 0x1
	global_load_b128 v[2:5], v1, s[4:5] offset:16
	global_load_b128 v[6:9], v1, s[4:5]
	s_wait_xcnt 0x0
	v_dual_lshlrev_b32 v15, 3, v0 :: v_dual_add_nc_u32 v1, v14, v1
	v_and_b32_e32 v16, 0x78, v10
	v_and_b32_e32 v17, 0xb8, v11
	;; [unrolled: 1-line block ×3, first 2 shown]
	s_delay_alu instid0(VALU_DEP_4) | instskip(SKIP_1) | instid1(VALU_DEP_3)
	v_add_nc_u32_e32 v10, v13, v15
	s_movk_i32 s4, 0x64
	v_dual_add_nc_u32 v11, v16, v15 :: v_dual_add_nc_u32 v12, v17, v15
	s_delay_alu instid0(VALU_DEP_3)
	v_add_nc_u32_e32 v13, v18, v15
.LBB21_1:                               ; =>This Inner Loop Header: Depth=1
	s_wait_loadcnt 0x0
	ds_store_2addr_b64 v1, v[6:7], v[8:9] offset1:1
	ds_store_2addr_b64 v1, v[2:3], v[4:5] offset0:2 offset1:3
	s_wait_dscnt 0x0
	s_barrier_signal -1
	s_barrier_wait -1
	ds_load_b64 v[6:7], v10
	ds_load_b64 v[8:9], v11 offset:2048
	ds_load_b64 v[2:3], v12 offset:4096
	;; [unrolled: 1-line block ×3, first 2 shown]
	s_add_co_i32 s4, s4, -1
	s_wait_dscnt 0x0
	s_cmp_lg_u32 s4, 0
	s_barrier_signal -1
	s_barrier_wait -1
	s_cbranch_scc1 .LBB21_1
; %bb.2:
	s_load_b64 s[0:1], s[0:1], 0x10
	s_wait_kmcnt 0x0
	s_add_nc_u64 s[0:1], s[0:1], s[2:3]
	s_clause 0x3
	global_store_b64 v0, v[6:7], s[0:1] scale_offset
	global_store_b64 v0, v[8:9], s[0:1] offset:2048 scale_offset
	global_store_b64 v0, v[2:3], s[0:1] offset:4096 scale_offset
	;; [unrolled: 1-line block ×3, first 2 shown]
	s_endpgm
	.section	.rodata,"a",@progbits
	.p2align	6, 0x0
	.amdhsa_kernel _Z6kernelI18blocked_to_stripedN15benchmark_utils11custom_typeIffEELj256ELj4ELj100EEvPKT0_PKjPS4_
		.amdhsa_group_segment_fixed_size 8448
		.amdhsa_private_segment_fixed_size 0
		.amdhsa_kernarg_size 24
		.amdhsa_user_sgpr_count 2
		.amdhsa_user_sgpr_dispatch_ptr 0
		.amdhsa_user_sgpr_queue_ptr 0
		.amdhsa_user_sgpr_kernarg_segment_ptr 1
		.amdhsa_user_sgpr_dispatch_id 0
		.amdhsa_user_sgpr_kernarg_preload_length 0
		.amdhsa_user_sgpr_kernarg_preload_offset 0
		.amdhsa_user_sgpr_private_segment_size 0
		.amdhsa_wavefront_size32 1
		.amdhsa_uses_dynamic_stack 0
		.amdhsa_enable_private_segment 0
		.amdhsa_system_sgpr_workgroup_id_x 1
		.amdhsa_system_sgpr_workgroup_id_y 0
		.amdhsa_system_sgpr_workgroup_id_z 0
		.amdhsa_system_sgpr_workgroup_info 0
		.amdhsa_system_vgpr_workitem_id 0
		.amdhsa_next_free_vgpr 19
		.amdhsa_next_free_sgpr 7
		.amdhsa_named_barrier_count 0
		.amdhsa_reserve_vcc 0
		.amdhsa_float_round_mode_32 0
		.amdhsa_float_round_mode_16_64 0
		.amdhsa_float_denorm_mode_32 3
		.amdhsa_float_denorm_mode_16_64 3
		.amdhsa_fp16_overflow 0
		.amdhsa_memory_ordered 1
		.amdhsa_forward_progress 1
		.amdhsa_inst_pref_size 4
		.amdhsa_round_robin_scheduling 0
		.amdhsa_exception_fp_ieee_invalid_op 0
		.amdhsa_exception_fp_denorm_src 0
		.amdhsa_exception_fp_ieee_div_zero 0
		.amdhsa_exception_fp_ieee_overflow 0
		.amdhsa_exception_fp_ieee_underflow 0
		.amdhsa_exception_fp_ieee_inexact 0
		.amdhsa_exception_int_div_zero 0
	.end_amdhsa_kernel
	.section	.text._Z6kernelI18blocked_to_stripedN15benchmark_utils11custom_typeIffEELj256ELj4ELj100EEvPKT0_PKjPS4_,"axG",@progbits,_Z6kernelI18blocked_to_stripedN15benchmark_utils11custom_typeIffEELj256ELj4ELj100EEvPKT0_PKjPS4_,comdat
.Lfunc_end21:
	.size	_Z6kernelI18blocked_to_stripedN15benchmark_utils11custom_typeIffEELj256ELj4ELj100EEvPKT0_PKjPS4_, .Lfunc_end21-_Z6kernelI18blocked_to_stripedN15benchmark_utils11custom_typeIffEELj256ELj4ELj100EEvPKT0_PKjPS4_
                                        ; -- End function
	.set _Z6kernelI18blocked_to_stripedN15benchmark_utils11custom_typeIffEELj256ELj4ELj100EEvPKT0_PKjPS4_.num_vgpr, 19
	.set _Z6kernelI18blocked_to_stripedN15benchmark_utils11custom_typeIffEELj256ELj4ELj100EEvPKT0_PKjPS4_.num_agpr, 0
	.set _Z6kernelI18blocked_to_stripedN15benchmark_utils11custom_typeIffEELj256ELj4ELj100EEvPKT0_PKjPS4_.numbered_sgpr, 7
	.set _Z6kernelI18blocked_to_stripedN15benchmark_utils11custom_typeIffEELj256ELj4ELj100EEvPKT0_PKjPS4_.num_named_barrier, 0
	.set _Z6kernelI18blocked_to_stripedN15benchmark_utils11custom_typeIffEELj256ELj4ELj100EEvPKT0_PKjPS4_.private_seg_size, 0
	.set _Z6kernelI18blocked_to_stripedN15benchmark_utils11custom_typeIffEELj256ELj4ELj100EEvPKT0_PKjPS4_.uses_vcc, 0
	.set _Z6kernelI18blocked_to_stripedN15benchmark_utils11custom_typeIffEELj256ELj4ELj100EEvPKT0_PKjPS4_.uses_flat_scratch, 0
	.set _Z6kernelI18blocked_to_stripedN15benchmark_utils11custom_typeIffEELj256ELj4ELj100EEvPKT0_PKjPS4_.has_dyn_sized_stack, 0
	.set _Z6kernelI18blocked_to_stripedN15benchmark_utils11custom_typeIffEELj256ELj4ELj100EEvPKT0_PKjPS4_.has_recursion, 0
	.set _Z6kernelI18blocked_to_stripedN15benchmark_utils11custom_typeIffEELj256ELj4ELj100EEvPKT0_PKjPS4_.has_indirect_call, 0
	.section	.AMDGPU.csdata,"",@progbits
; Kernel info:
; codeLenInByte = 388
; TotalNumSgprs: 7
; NumVgprs: 19
; ScratchSize: 0
; MemoryBound: 0
; FloatMode: 240
; IeeeMode: 1
; LDSByteSize: 8448 bytes/workgroup (compile time only)
; SGPRBlocks: 0
; VGPRBlocks: 1
; NumSGPRsForWavesPerEU: 7
; NumVGPRsForWavesPerEU: 19
; NamedBarCnt: 0
; Occupancy: 16
; WaveLimiterHint : 1
; COMPUTE_PGM_RSRC2:SCRATCH_EN: 0
; COMPUTE_PGM_RSRC2:USER_SGPR: 2
; COMPUTE_PGM_RSRC2:TRAP_HANDLER: 0
; COMPUTE_PGM_RSRC2:TGID_X_EN: 1
; COMPUTE_PGM_RSRC2:TGID_Y_EN: 0
; COMPUTE_PGM_RSRC2:TGID_Z_EN: 0
; COMPUTE_PGM_RSRC2:TIDIG_COMP_CNT: 0
	.section	.text._Z6kernelI18blocked_to_stripedN15benchmark_utils11custom_typeIffEELj256ELj7ELj100EEvPKT0_PKjPS4_,"axG",@progbits,_Z6kernelI18blocked_to_stripedN15benchmark_utils11custom_typeIffEELj256ELj7ELj100EEvPKT0_PKjPS4_,comdat
	.protected	_Z6kernelI18blocked_to_stripedN15benchmark_utils11custom_typeIffEELj256ELj7ELj100EEvPKT0_PKjPS4_ ; -- Begin function _Z6kernelI18blocked_to_stripedN15benchmark_utils11custom_typeIffEELj256ELj7ELj100EEvPKT0_PKjPS4_
	.globl	_Z6kernelI18blocked_to_stripedN15benchmark_utils11custom_typeIffEELj256ELj7ELj100EEvPKT0_PKjPS4_
	.p2align	8
	.type	_Z6kernelI18blocked_to_stripedN15benchmark_utils11custom_typeIffEELj256ELj7ELj100EEvPKT0_PKjPS4_,@function
_Z6kernelI18blocked_to_stripedN15benchmark_utils11custom_typeIffEELj256ELj7ELj100EEvPKT0_PKjPS4_: ; @_Z6kernelI18blocked_to_stripedN15benchmark_utils11custom_typeIffEELj256ELj7ELj100EEvPKT0_PKjPS4_
; %bb.0:
	s_load_b64 s[4:5], s[0:1], 0x0
	s_bfe_u32 s2, ttmp6, 0x4000c
	s_and_b32 s3, ttmp6, 15
	s_add_co_i32 s2, s2, 1
	s_getreg_b32 s6, hwreg(HW_REG_IB_STS2, 6, 4)
	s_mul_i32 s2, ttmp9, s2
	v_mul_u32_u24_e32 v16, 7, v0
	s_add_co_i32 s3, s3, s2
	s_cmp_eq_u32 s6, 0
	s_cselect_b32 s2, ttmp9, s3
	s_mov_b32 s3, 0
	s_mulk_i32 s2, 0x700
	v_lshlrev_b32_e32 v1, 3, v16
	s_lshl_b64 s[2:3], s[2:3], 3
	s_wait_kmcnt 0x0
	s_add_nc_u64 s[4:5], s[4:5], s[2:3]
	s_clause 0x3
	global_load_b64 v[14:15], v16, s[4:5] offset:48 scale_offset
	global_load_b128 v[2:5], v1, s[4:5] offset:32
	global_load_b128 v[6:9], v1, s[4:5] offset:16
	global_load_b128 v[10:13], v1, s[4:5]
	s_wait_xcnt 0x3
	v_mul_i32_i24_e32 v16, 0xffffffd0, v0
	s_wait_xcnt 0x0
	s_movk_i32 s4, 0x64
	s_delay_alu instid0(VALU_DEP_1)
	v_add_nc_u32_e32 v16, v1, v16
.LBB22_1:                               ; =>This Inner Loop Header: Depth=1
	s_wait_loadcnt 0x0
	ds_store_2addr_b64 v1, v[10:11], v[12:13] offset1:1
	ds_store_2addr_b64 v1, v[6:7], v[8:9] offset0:2 offset1:3
	ds_store_2addr_b64 v1, v[2:3], v[4:5] offset0:4 offset1:5
	ds_store_b64 v1, v[14:15] offset:48
	s_wait_dscnt 0x0
	s_barrier_signal -1
	s_barrier_wait -1
	ds_load_2addr_stride64_b64 v[10:13], v16 offset1:4
	ds_load_2addr_stride64_b64 v[6:9], v16 offset0:8 offset1:12
	ds_load_2addr_stride64_b64 v[2:5], v16 offset0:16 offset1:20
	ds_load_b64 v[14:15], v16 offset:12288
	s_add_co_i32 s4, s4, -1
	s_wait_dscnt 0x0
	s_cmp_lg_u32 s4, 0
	s_barrier_signal -1
	s_barrier_wait -1
	s_cbranch_scc1 .LBB22_1
; %bb.2:
	s_load_b64 s[0:1], s[0:1], 0x10
	s_wait_kmcnt 0x0
	s_add_nc_u64 s[0:1], s[0:1], s[2:3]
	s_clause 0x6
	global_store_b64 v0, v[10:11], s[0:1] scale_offset
	global_store_b64 v0, v[12:13], s[0:1] offset:2048 scale_offset
	global_store_b64 v0, v[6:7], s[0:1] offset:4096 scale_offset
	global_store_b64 v0, v[8:9], s[0:1] offset:6144 scale_offset
	global_store_b64 v0, v[2:3], s[0:1] offset:8192 scale_offset
	global_store_b64 v0, v[4:5], s[0:1] offset:10240 scale_offset
	global_store_b64 v0, v[14:15], s[0:1] offset:12288 scale_offset
	s_endpgm
	.section	.rodata,"a",@progbits
	.p2align	6, 0x0
	.amdhsa_kernel _Z6kernelI18blocked_to_stripedN15benchmark_utils11custom_typeIffEELj256ELj7ELj100EEvPKT0_PKjPS4_
		.amdhsa_group_segment_fixed_size 14336
		.amdhsa_private_segment_fixed_size 0
		.amdhsa_kernarg_size 24
		.amdhsa_user_sgpr_count 2
		.amdhsa_user_sgpr_dispatch_ptr 0
		.amdhsa_user_sgpr_queue_ptr 0
		.amdhsa_user_sgpr_kernarg_segment_ptr 1
		.amdhsa_user_sgpr_dispatch_id 0
		.amdhsa_user_sgpr_kernarg_preload_length 0
		.amdhsa_user_sgpr_kernarg_preload_offset 0
		.amdhsa_user_sgpr_private_segment_size 0
		.amdhsa_wavefront_size32 1
		.amdhsa_uses_dynamic_stack 0
		.amdhsa_enable_private_segment 0
		.amdhsa_system_sgpr_workgroup_id_x 1
		.amdhsa_system_sgpr_workgroup_id_y 0
		.amdhsa_system_sgpr_workgroup_id_z 0
		.amdhsa_system_sgpr_workgroup_info 0
		.amdhsa_system_vgpr_workitem_id 0
		.amdhsa_next_free_vgpr 17
		.amdhsa_next_free_sgpr 7
		.amdhsa_named_barrier_count 0
		.amdhsa_reserve_vcc 0
		.amdhsa_float_round_mode_32 0
		.amdhsa_float_round_mode_16_64 0
		.amdhsa_float_denorm_mode_32 3
		.amdhsa_float_denorm_mode_16_64 3
		.amdhsa_fp16_overflow 0
		.amdhsa_memory_ordered 1
		.amdhsa_forward_progress 1
		.amdhsa_inst_pref_size 3
		.amdhsa_round_robin_scheduling 0
		.amdhsa_exception_fp_ieee_invalid_op 0
		.amdhsa_exception_fp_denorm_src 0
		.amdhsa_exception_fp_ieee_div_zero 0
		.amdhsa_exception_fp_ieee_overflow 0
		.amdhsa_exception_fp_ieee_underflow 0
		.amdhsa_exception_fp_ieee_inexact 0
		.amdhsa_exception_int_div_zero 0
	.end_amdhsa_kernel
	.section	.text._Z6kernelI18blocked_to_stripedN15benchmark_utils11custom_typeIffEELj256ELj7ELj100EEvPKT0_PKjPS4_,"axG",@progbits,_Z6kernelI18blocked_to_stripedN15benchmark_utils11custom_typeIffEELj256ELj7ELj100EEvPKT0_PKjPS4_,comdat
.Lfunc_end22:
	.size	_Z6kernelI18blocked_to_stripedN15benchmark_utils11custom_typeIffEELj256ELj7ELj100EEvPKT0_PKjPS4_, .Lfunc_end22-_Z6kernelI18blocked_to_stripedN15benchmark_utils11custom_typeIffEELj256ELj7ELj100EEvPKT0_PKjPS4_
                                        ; -- End function
	.set _Z6kernelI18blocked_to_stripedN15benchmark_utils11custom_typeIffEELj256ELj7ELj100EEvPKT0_PKjPS4_.num_vgpr, 17
	.set _Z6kernelI18blocked_to_stripedN15benchmark_utils11custom_typeIffEELj256ELj7ELj100EEvPKT0_PKjPS4_.num_agpr, 0
	.set _Z6kernelI18blocked_to_stripedN15benchmark_utils11custom_typeIffEELj256ELj7ELj100EEvPKT0_PKjPS4_.numbered_sgpr, 7
	.set _Z6kernelI18blocked_to_stripedN15benchmark_utils11custom_typeIffEELj256ELj7ELj100EEvPKT0_PKjPS4_.num_named_barrier, 0
	.set _Z6kernelI18blocked_to_stripedN15benchmark_utils11custom_typeIffEELj256ELj7ELj100EEvPKT0_PKjPS4_.private_seg_size, 0
	.set _Z6kernelI18blocked_to_stripedN15benchmark_utils11custom_typeIffEELj256ELj7ELj100EEvPKT0_PKjPS4_.uses_vcc, 0
	.set _Z6kernelI18blocked_to_stripedN15benchmark_utils11custom_typeIffEELj256ELj7ELj100EEvPKT0_PKjPS4_.uses_flat_scratch, 0
	.set _Z6kernelI18blocked_to_stripedN15benchmark_utils11custom_typeIffEELj256ELj7ELj100EEvPKT0_PKjPS4_.has_dyn_sized_stack, 0
	.set _Z6kernelI18blocked_to_stripedN15benchmark_utils11custom_typeIffEELj256ELj7ELj100EEvPKT0_PKjPS4_.has_recursion, 0
	.set _Z6kernelI18blocked_to_stripedN15benchmark_utils11custom_typeIffEELj256ELj7ELj100EEvPKT0_PKjPS4_.has_indirect_call, 0
	.section	.AMDGPU.csdata,"",@progbits
; Kernel info:
; codeLenInByte = 364
; TotalNumSgprs: 7
; NumVgprs: 17
; ScratchSize: 0
; MemoryBound: 1
; FloatMode: 240
; IeeeMode: 1
; LDSByteSize: 14336 bytes/workgroup (compile time only)
; SGPRBlocks: 0
; VGPRBlocks: 1
; NumSGPRsForWavesPerEU: 7
; NumVGPRsForWavesPerEU: 17
; NamedBarCnt: 0
; Occupancy: 16
; WaveLimiterHint : 1
; COMPUTE_PGM_RSRC2:SCRATCH_EN: 0
; COMPUTE_PGM_RSRC2:USER_SGPR: 2
; COMPUTE_PGM_RSRC2:TRAP_HANDLER: 0
; COMPUTE_PGM_RSRC2:TGID_X_EN: 1
; COMPUTE_PGM_RSRC2:TGID_Y_EN: 0
; COMPUTE_PGM_RSRC2:TGID_Z_EN: 0
; COMPUTE_PGM_RSRC2:TIDIG_COMP_CNT: 0
	.section	.text._Z6kernelI18blocked_to_stripedN15benchmark_utils11custom_typeIffEELj256ELj8ELj100EEvPKT0_PKjPS4_,"axG",@progbits,_Z6kernelI18blocked_to_stripedN15benchmark_utils11custom_typeIffEELj256ELj8ELj100EEvPKT0_PKjPS4_,comdat
	.protected	_Z6kernelI18blocked_to_stripedN15benchmark_utils11custom_typeIffEELj256ELj8ELj100EEvPKT0_PKjPS4_ ; -- Begin function _Z6kernelI18blocked_to_stripedN15benchmark_utils11custom_typeIffEELj256ELj8ELj100EEvPKT0_PKjPS4_
	.globl	_Z6kernelI18blocked_to_stripedN15benchmark_utils11custom_typeIffEELj256ELj8ELj100EEvPKT0_PKjPS4_
	.p2align	8
	.type	_Z6kernelI18blocked_to_stripedN15benchmark_utils11custom_typeIffEELj256ELj8ELj100EEvPKT0_PKjPS4_,@function
_Z6kernelI18blocked_to_stripedN15benchmark_utils11custom_typeIffEELj256ELj8ELj100EEvPKT0_PKjPS4_: ; @_Z6kernelI18blocked_to_stripedN15benchmark_utils11custom_typeIffEELj256ELj8ELj100EEvPKT0_PKjPS4_
; %bb.0:
	s_load_b64 s[4:5], s[0:1], 0x0
	s_bfe_u32 s2, ttmp6, 0x4000c
	s_and_b32 s3, ttmp6, 15
	s_add_co_i32 s2, s2, 1
	s_getreg_b32 s6, hwreg(HW_REG_IB_STS2, 6, 4)
	s_mul_i32 s2, ttmp9, s2
	v_dual_lshlrev_b32 v1, 6, v0 :: v_dual_lshrrev_b32 v20, 2, v0
	s_add_co_i32 s3, s3, s2
	s_cmp_eq_u32 s6, 0
	v_or_b32_e32 v18, 0x100, v0
	s_cselect_b32 s2, ttmp9, s3
	s_mov_b32 s3, 0
	s_lshl_b32 s2, s2, 11
	v_or_b32_e32 v19, 0x200, v0
	s_lshl_b64 s[2:3], s[2:3], 3
	v_dual_lshrrev_b32 v18, 2, v18 :: v_dual_lshlrev_b32 v25, 3, v0
	v_or_b32_e32 v24, 0x600, v0
	s_delay_alu instid0(VALU_DEP_3)
	v_lshrrev_b32_e32 v19, 2, v19
	s_wait_kmcnt 0x0
	s_add_nc_u64 s[4:5], s[4:5], s[2:3]
	v_and_b32_e32 v22, 0x78, v18
	s_clause 0x3
	global_load_b128 v[2:5], v1, s[4:5] offset:48
	global_load_b128 v[6:9], v1, s[4:5] offset:32
	;; [unrolled: 1-line block ×3, first 2 shown]
	global_load_b128 v[14:17], v1, s[4:5]
	v_and_b32_e32 v21, 56, v20
	v_and_b32_e32 v23, 0xb8, v19
	s_wait_xcnt 0x0
	v_lshl_add_u32 v1, v20, 3, v1
	v_or_b32_e32 v26, 0x700, v0
	v_dual_lshrrev_b32 v24, 2, v24 :: v_dual_add_nc_u32 v18, v21, v25
	v_or_b32_e32 v21, 0x300, v0
	s_movk_i32 s4, 0x64
	s_delay_alu instid0(VALU_DEP_3) | instskip(NEXT) | instid1(VALU_DEP_3)
	v_lshrrev_b32_e32 v26, 2, v26
	v_and_b32_e32 v24, 0x1b8, v24
	s_delay_alu instid0(VALU_DEP_3) | instskip(SKIP_3) | instid1(VALU_DEP_4)
	v_lshrrev_b32_e32 v21, 2, v21
	v_dual_add_nc_u32 v19, v22, v25 :: v_dual_add_nc_u32 v20, v23, v25
	v_or_b32_e32 v22, 0x400, v0
	v_or_b32_e32 v23, 0x500, v0
	v_and_b32_e32 v21, 0xf8, v21
	v_and_b32_e32 v26, 0x1f8, v26
	s_delay_alu instid0(VALU_DEP_4) | instskip(NEXT) | instid1(VALU_DEP_4)
	v_dual_add_nc_u32 v24, v24, v25 :: v_dual_lshrrev_b32 v22, 2, v22
	v_lshrrev_b32_e32 v23, 2, v23
	s_delay_alu instid0(VALU_DEP_2) | instskip(NEXT) | instid1(VALU_DEP_2)
	v_and_b32_e32 v22, 0x138, v22
	v_and_b32_e32 v23, 0x178, v23
	s_delay_alu instid0(VALU_DEP_2) | instskip(NEXT) | instid1(VALU_DEP_2)
	v_dual_add_nc_u32 v21, v21, v25 :: v_dual_add_nc_u32 v22, v22, v25
	v_dual_add_nc_u32 v23, v23, v25 :: v_dual_add_nc_u32 v25, v26, v25
.LBB23_1:                               ; =>This Inner Loop Header: Depth=1
	s_wait_loadcnt 0x0
	ds_store_2addr_b64 v1, v[14:15], v[16:17] offset1:1
	ds_store_2addr_b64 v1, v[10:11], v[12:13] offset0:2 offset1:3
	ds_store_2addr_b64 v1, v[6:7], v[8:9] offset0:4 offset1:5
	;; [unrolled: 1-line block ×3, first 2 shown]
	s_wait_dscnt 0x0
	s_barrier_signal -1
	s_barrier_wait -1
	ds_load_b64 v[14:15], v18
	ds_load_b64 v[16:17], v19 offset:2048
	ds_load_b64 v[10:11], v20 offset:4096
	;; [unrolled: 1-line block ×7, first 2 shown]
	s_add_co_i32 s4, s4, -1
	s_wait_dscnt 0x0
	s_cmp_lg_u32 s4, 0
	s_barrier_signal -1
	s_barrier_wait -1
	s_cbranch_scc1 .LBB23_1
; %bb.2:
	s_load_b64 s[0:1], s[0:1], 0x10
	s_wait_kmcnt 0x0
	s_add_nc_u64 s[0:1], s[0:1], s[2:3]
	s_clause 0x7
	global_store_b64 v0, v[14:15], s[0:1] scale_offset
	global_store_b64 v0, v[16:17], s[0:1] offset:2048 scale_offset
	global_store_b64 v0, v[10:11], s[0:1] offset:4096 scale_offset
	;; [unrolled: 1-line block ×7, first 2 shown]
	s_endpgm
	.section	.rodata,"a",@progbits
	.p2align	6, 0x0
	.amdhsa_kernel _Z6kernelI18blocked_to_stripedN15benchmark_utils11custom_typeIffEELj256ELj8ELj100EEvPKT0_PKjPS4_
		.amdhsa_group_segment_fixed_size 16896
		.amdhsa_private_segment_fixed_size 0
		.amdhsa_kernarg_size 24
		.amdhsa_user_sgpr_count 2
		.amdhsa_user_sgpr_dispatch_ptr 0
		.amdhsa_user_sgpr_queue_ptr 0
		.amdhsa_user_sgpr_kernarg_segment_ptr 1
		.amdhsa_user_sgpr_dispatch_id 0
		.amdhsa_user_sgpr_kernarg_preload_length 0
		.amdhsa_user_sgpr_kernarg_preload_offset 0
		.amdhsa_user_sgpr_private_segment_size 0
		.amdhsa_wavefront_size32 1
		.amdhsa_uses_dynamic_stack 0
		.amdhsa_enable_private_segment 0
		.amdhsa_system_sgpr_workgroup_id_x 1
		.amdhsa_system_sgpr_workgroup_id_y 0
		.amdhsa_system_sgpr_workgroup_id_z 0
		.amdhsa_system_sgpr_workgroup_info 0
		.amdhsa_system_vgpr_workitem_id 0
		.amdhsa_next_free_vgpr 27
		.amdhsa_next_free_sgpr 7
		.amdhsa_named_barrier_count 0
		.amdhsa_reserve_vcc 0
		.amdhsa_float_round_mode_32 0
		.amdhsa_float_round_mode_16_64 0
		.amdhsa_float_denorm_mode_32 3
		.amdhsa_float_denorm_mode_16_64 3
		.amdhsa_fp16_overflow 0
		.amdhsa_memory_ordered 1
		.amdhsa_forward_progress 1
		.amdhsa_inst_pref_size 5
		.amdhsa_round_robin_scheduling 0
		.amdhsa_exception_fp_ieee_invalid_op 0
		.amdhsa_exception_fp_denorm_src 0
		.amdhsa_exception_fp_ieee_div_zero 0
		.amdhsa_exception_fp_ieee_overflow 0
		.amdhsa_exception_fp_ieee_underflow 0
		.amdhsa_exception_fp_ieee_inexact 0
		.amdhsa_exception_int_div_zero 0
	.end_amdhsa_kernel
	.section	.text._Z6kernelI18blocked_to_stripedN15benchmark_utils11custom_typeIffEELj256ELj8ELj100EEvPKT0_PKjPS4_,"axG",@progbits,_Z6kernelI18blocked_to_stripedN15benchmark_utils11custom_typeIffEELj256ELj8ELj100EEvPKT0_PKjPS4_,comdat
.Lfunc_end23:
	.size	_Z6kernelI18blocked_to_stripedN15benchmark_utils11custom_typeIffEELj256ELj8ELj100EEvPKT0_PKjPS4_, .Lfunc_end23-_Z6kernelI18blocked_to_stripedN15benchmark_utils11custom_typeIffEELj256ELj8ELj100EEvPKT0_PKjPS4_
                                        ; -- End function
	.set _Z6kernelI18blocked_to_stripedN15benchmark_utils11custom_typeIffEELj256ELj8ELj100EEvPKT0_PKjPS4_.num_vgpr, 27
	.set _Z6kernelI18blocked_to_stripedN15benchmark_utils11custom_typeIffEELj256ELj8ELj100EEvPKT0_PKjPS4_.num_agpr, 0
	.set _Z6kernelI18blocked_to_stripedN15benchmark_utils11custom_typeIffEELj256ELj8ELj100EEvPKT0_PKjPS4_.numbered_sgpr, 7
	.set _Z6kernelI18blocked_to_stripedN15benchmark_utils11custom_typeIffEELj256ELj8ELj100EEvPKT0_PKjPS4_.num_named_barrier, 0
	.set _Z6kernelI18blocked_to_stripedN15benchmark_utils11custom_typeIffEELj256ELj8ELj100EEvPKT0_PKjPS4_.private_seg_size, 0
	.set _Z6kernelI18blocked_to_stripedN15benchmark_utils11custom_typeIffEELj256ELj8ELj100EEvPKT0_PKjPS4_.uses_vcc, 0
	.set _Z6kernelI18blocked_to_stripedN15benchmark_utils11custom_typeIffEELj256ELj8ELj100EEvPKT0_PKjPS4_.uses_flat_scratch, 0
	.set _Z6kernelI18blocked_to_stripedN15benchmark_utils11custom_typeIffEELj256ELj8ELj100EEvPKT0_PKjPS4_.has_dyn_sized_stack, 0
	.set _Z6kernelI18blocked_to_stripedN15benchmark_utils11custom_typeIffEELj256ELj8ELj100EEvPKT0_PKjPS4_.has_recursion, 0
	.set _Z6kernelI18blocked_to_stripedN15benchmark_utils11custom_typeIffEELj256ELj8ELj100EEvPKT0_PKjPS4_.has_indirect_call, 0
	.section	.AMDGPU.csdata,"",@progbits
; Kernel info:
; codeLenInByte = 628
; TotalNumSgprs: 7
; NumVgprs: 27
; ScratchSize: 0
; MemoryBound: 0
; FloatMode: 240
; IeeeMode: 1
; LDSByteSize: 16896 bytes/workgroup (compile time only)
; SGPRBlocks: 0
; VGPRBlocks: 1
; NumSGPRsForWavesPerEU: 7
; NumVGPRsForWavesPerEU: 27
; NamedBarCnt: 0
; Occupancy: 16
; WaveLimiterHint : 1
; COMPUTE_PGM_RSRC2:SCRATCH_EN: 0
; COMPUTE_PGM_RSRC2:USER_SGPR: 2
; COMPUTE_PGM_RSRC2:TRAP_HANDLER: 0
; COMPUTE_PGM_RSRC2:TGID_X_EN: 1
; COMPUTE_PGM_RSRC2:TGID_Y_EN: 0
; COMPUTE_PGM_RSRC2:TGID_Z_EN: 0
; COMPUTE_PGM_RSRC2:TIDIG_COMP_CNT: 0
	.section	.text._Z6kernelI18blocked_to_stripedN15benchmark_utils11custom_typeIddEELj256ELj1ELj100EEvPKT0_PKjPS4_,"axG",@progbits,_Z6kernelI18blocked_to_stripedN15benchmark_utils11custom_typeIddEELj256ELj1ELj100EEvPKT0_PKjPS4_,comdat
	.protected	_Z6kernelI18blocked_to_stripedN15benchmark_utils11custom_typeIddEELj256ELj1ELj100EEvPKT0_PKjPS4_ ; -- Begin function _Z6kernelI18blocked_to_stripedN15benchmark_utils11custom_typeIddEELj256ELj1ELj100EEvPKT0_PKjPS4_
	.globl	_Z6kernelI18blocked_to_stripedN15benchmark_utils11custom_typeIddEELj256ELj1ELj100EEvPKT0_PKjPS4_
	.p2align	8
	.type	_Z6kernelI18blocked_to_stripedN15benchmark_utils11custom_typeIddEELj256ELj1ELj100EEvPKT0_PKjPS4_,@function
_Z6kernelI18blocked_to_stripedN15benchmark_utils11custom_typeIddEELj256ELj1ELj100EEvPKT0_PKjPS4_: ; @_Z6kernelI18blocked_to_stripedN15benchmark_utils11custom_typeIddEELj256ELj1ELj100EEvPKT0_PKjPS4_
; %bb.0:
	s_load_b64 s[4:5], s[0:1], 0x0
	s_bfe_u32 s2, ttmp6, 0x4000c
	s_and_b32 s3, ttmp6, 15
	s_add_co_i32 s2, s2, 1
	s_getreg_b32 s6, hwreg(HW_REG_IB_STS2, 6, 4)
	s_mul_i32 s2, ttmp9, s2
	v_lshlrev_b32_e32 v1, 4, v0
	s_add_co_i32 s3, s3, s2
	s_cmp_eq_u32 s6, 0
	s_cselect_b32 s2, ttmp9, s3
	s_mov_b32 s3, 0
	s_lshl_b32 s2, s2, 8
	s_delay_alu instid0(SALU_CYCLE_1)
	s_lshl_b64 s[2:3], s[2:3], 4
	s_wait_kmcnt 0x0
	s_add_nc_u64 s[4:5], s[4:5], s[2:3]
	global_load_b128 v[2:5], v0, s[4:5] scale_offset
	s_wait_xcnt 0x0
	s_movk_i32 s4, 0x64
.LBB24_1:                               ; =>This Inner Loop Header: Depth=1
	s_wait_loadcnt 0x0
	ds_store_b128 v1, v[2:5]
	s_wait_dscnt 0x0
	s_barrier_signal -1
	s_barrier_wait -1
	ds_load_b128 v[2:5], v1
	s_add_co_i32 s4, s4, -1
	s_wait_dscnt 0x0
	s_cmp_lg_u32 s4, 0
	s_barrier_signal -1
	s_barrier_wait -1
	s_cbranch_scc1 .LBB24_1
; %bb.2:
	s_load_b64 s[0:1], s[0:1], 0x10
	s_wait_kmcnt 0x0
	s_add_nc_u64 s[0:1], s[0:1], s[2:3]
	global_store_b128 v0, v[2:5], s[0:1] scale_offset
	s_endpgm
	.section	.rodata,"a",@progbits
	.p2align	6, 0x0
	.amdhsa_kernel _Z6kernelI18blocked_to_stripedN15benchmark_utils11custom_typeIddEELj256ELj1ELj100EEvPKT0_PKjPS4_
		.amdhsa_group_segment_fixed_size 4096
		.amdhsa_private_segment_fixed_size 0
		.amdhsa_kernarg_size 24
		.amdhsa_user_sgpr_count 2
		.amdhsa_user_sgpr_dispatch_ptr 0
		.amdhsa_user_sgpr_queue_ptr 0
		.amdhsa_user_sgpr_kernarg_segment_ptr 1
		.amdhsa_user_sgpr_dispatch_id 0
		.amdhsa_user_sgpr_kernarg_preload_length 0
		.amdhsa_user_sgpr_kernarg_preload_offset 0
		.amdhsa_user_sgpr_private_segment_size 0
		.amdhsa_wavefront_size32 1
		.amdhsa_uses_dynamic_stack 0
		.amdhsa_enable_private_segment 0
		.amdhsa_system_sgpr_workgroup_id_x 1
		.amdhsa_system_sgpr_workgroup_id_y 0
		.amdhsa_system_sgpr_workgroup_id_z 0
		.amdhsa_system_sgpr_workgroup_info 0
		.amdhsa_system_vgpr_workitem_id 0
		.amdhsa_next_free_vgpr 6
		.amdhsa_next_free_sgpr 7
		.amdhsa_named_barrier_count 0
		.amdhsa_reserve_vcc 0
		.amdhsa_float_round_mode_32 0
		.amdhsa_float_round_mode_16_64 0
		.amdhsa_float_denorm_mode_32 3
		.amdhsa_float_denorm_mode_16_64 3
		.amdhsa_fp16_overflow 0
		.amdhsa_memory_ordered 1
		.amdhsa_forward_progress 1
		.amdhsa_inst_pref_size 2
		.amdhsa_round_robin_scheduling 0
		.amdhsa_exception_fp_ieee_invalid_op 0
		.amdhsa_exception_fp_denorm_src 0
		.amdhsa_exception_fp_ieee_div_zero 0
		.amdhsa_exception_fp_ieee_overflow 0
		.amdhsa_exception_fp_ieee_underflow 0
		.amdhsa_exception_fp_ieee_inexact 0
		.amdhsa_exception_int_div_zero 0
	.end_amdhsa_kernel
	.section	.text._Z6kernelI18blocked_to_stripedN15benchmark_utils11custom_typeIddEELj256ELj1ELj100EEvPKT0_PKjPS4_,"axG",@progbits,_Z6kernelI18blocked_to_stripedN15benchmark_utils11custom_typeIddEELj256ELj1ELj100EEvPKT0_PKjPS4_,comdat
.Lfunc_end24:
	.size	_Z6kernelI18blocked_to_stripedN15benchmark_utils11custom_typeIddEELj256ELj1ELj100EEvPKT0_PKjPS4_, .Lfunc_end24-_Z6kernelI18blocked_to_stripedN15benchmark_utils11custom_typeIddEELj256ELj1ELj100EEvPKT0_PKjPS4_
                                        ; -- End function
	.set _Z6kernelI18blocked_to_stripedN15benchmark_utils11custom_typeIddEELj256ELj1ELj100EEvPKT0_PKjPS4_.num_vgpr, 6
	.set _Z6kernelI18blocked_to_stripedN15benchmark_utils11custom_typeIddEELj256ELj1ELj100EEvPKT0_PKjPS4_.num_agpr, 0
	.set _Z6kernelI18blocked_to_stripedN15benchmark_utils11custom_typeIddEELj256ELj1ELj100EEvPKT0_PKjPS4_.numbered_sgpr, 7
	.set _Z6kernelI18blocked_to_stripedN15benchmark_utils11custom_typeIddEELj256ELj1ELj100EEvPKT0_PKjPS4_.num_named_barrier, 0
	.set _Z6kernelI18blocked_to_stripedN15benchmark_utils11custom_typeIddEELj256ELj1ELj100EEvPKT0_PKjPS4_.private_seg_size, 0
	.set _Z6kernelI18blocked_to_stripedN15benchmark_utils11custom_typeIddEELj256ELj1ELj100EEvPKT0_PKjPS4_.uses_vcc, 0
	.set _Z6kernelI18blocked_to_stripedN15benchmark_utils11custom_typeIddEELj256ELj1ELj100EEvPKT0_PKjPS4_.uses_flat_scratch, 0
	.set _Z6kernelI18blocked_to_stripedN15benchmark_utils11custom_typeIddEELj256ELj1ELj100EEvPKT0_PKjPS4_.has_dyn_sized_stack, 0
	.set _Z6kernelI18blocked_to_stripedN15benchmark_utils11custom_typeIddEELj256ELj1ELj100EEvPKT0_PKjPS4_.has_recursion, 0
	.set _Z6kernelI18blocked_to_stripedN15benchmark_utils11custom_typeIddEELj256ELj1ELj100EEvPKT0_PKjPS4_.has_indirect_call, 0
	.section	.AMDGPU.csdata,"",@progbits
; Kernel info:
; codeLenInByte = 180
; TotalNumSgprs: 7
; NumVgprs: 6
; ScratchSize: 0
; MemoryBound: 0
; FloatMode: 240
; IeeeMode: 1
; LDSByteSize: 4096 bytes/workgroup (compile time only)
; SGPRBlocks: 0
; VGPRBlocks: 0
; NumSGPRsForWavesPerEU: 7
; NumVGPRsForWavesPerEU: 6
; NamedBarCnt: 0
; Occupancy: 16
; WaveLimiterHint : 0
; COMPUTE_PGM_RSRC2:SCRATCH_EN: 0
; COMPUTE_PGM_RSRC2:USER_SGPR: 2
; COMPUTE_PGM_RSRC2:TRAP_HANDLER: 0
; COMPUTE_PGM_RSRC2:TGID_X_EN: 1
; COMPUTE_PGM_RSRC2:TGID_Y_EN: 0
; COMPUTE_PGM_RSRC2:TGID_Z_EN: 0
; COMPUTE_PGM_RSRC2:TIDIG_COMP_CNT: 0
	.section	.text._Z6kernelI18blocked_to_stripedN15benchmark_utils11custom_typeIddEELj256ELj2ELj100EEvPKT0_PKjPS4_,"axG",@progbits,_Z6kernelI18blocked_to_stripedN15benchmark_utils11custom_typeIddEELj256ELj2ELj100EEvPKT0_PKjPS4_,comdat
	.protected	_Z6kernelI18blocked_to_stripedN15benchmark_utils11custom_typeIddEELj256ELj2ELj100EEvPKT0_PKjPS4_ ; -- Begin function _Z6kernelI18blocked_to_stripedN15benchmark_utils11custom_typeIddEELj256ELj2ELj100EEvPKT0_PKjPS4_
	.globl	_Z6kernelI18blocked_to_stripedN15benchmark_utils11custom_typeIddEELj256ELj2ELj100EEvPKT0_PKjPS4_
	.p2align	8
	.type	_Z6kernelI18blocked_to_stripedN15benchmark_utils11custom_typeIddEELj256ELj2ELj100EEvPKT0_PKjPS4_,@function
_Z6kernelI18blocked_to_stripedN15benchmark_utils11custom_typeIddEELj256ELj2ELj100EEvPKT0_PKjPS4_: ; @_Z6kernelI18blocked_to_stripedN15benchmark_utils11custom_typeIddEELj256ELj2ELj100EEvPKT0_PKjPS4_
; %bb.0:
	s_load_b64 s[4:5], s[0:1], 0x0
	s_bfe_u32 s2, ttmp6, 0x4000c
	s_and_b32 s3, ttmp6, 15
	s_add_co_i32 s2, s2, 1
	s_getreg_b32 s6, hwreg(HW_REG_IB_STS2, 6, 4)
	s_mul_i32 s2, ttmp9, s2
	v_dual_lshlrev_b32 v1, 5, v0 :: v_dual_lshrrev_b32 v11, 1, v0
	s_add_co_i32 s3, s3, s2
	s_cmp_eq_u32 s6, 0
	v_or_b32_e32 v10, 0x100, v0
	s_cselect_b32 s2, ttmp9, s3
	s_mov_b32 s3, 0
	s_lshl_b32 s2, s2, 9
	v_and_b32_e32 v12, 0xf0, v0
	s_lshl_b64 s[2:3], s[2:3], 4
	v_dual_lshrrev_b32 v10, 1, v10 :: v_dual_lshlrev_b32 v13, 4, v0
	v_and_b32_e32 v11, 0x70, v11
	s_wait_kmcnt 0x0
	s_add_nc_u64 s[4:5], s[4:5], s[2:3]
	s_delay_alu instid0(VALU_DEP_2)
	v_and_b32_e32 v14, 0xf0, v10
	s_clause 0x1
	global_load_b128 v[2:5], v1, s[4:5] offset:16
	global_load_b128 v[6:9], v1, s[4:5]
	s_wait_xcnt 0x0
	v_add_nc_u32_e32 v1, v12, v1
	v_add_nc_u32_e32 v10, v11, v13
	s_movk_i32 s4, 0x64
	v_add_nc_u32_e32 v11, v14, v13
.LBB25_1:                               ; =>This Inner Loop Header: Depth=1
	s_wait_loadcnt 0x0
	ds_store_b128 v1, v[6:9]
	ds_store_b128 v1, v[2:5] offset:16
	s_wait_dscnt 0x0
	s_barrier_signal -1
	s_barrier_wait -1
	ds_load_b128 v[6:9], v10
	ds_load_b128 v[2:5], v11 offset:4096
	s_add_co_i32 s4, s4, -1
	s_wait_dscnt 0x0
	s_cmp_lg_u32 s4, 0
	s_barrier_signal -1
	s_barrier_wait -1
	s_cbranch_scc1 .LBB25_1
; %bb.2:
	s_load_b64 s[0:1], s[0:1], 0x10
	s_wait_kmcnt 0x0
	s_add_nc_u64 s[0:1], s[0:1], s[2:3]
	s_clause 0x1
	global_store_b128 v0, v[6:9], s[0:1] scale_offset
	global_store_b128 v0, v[2:5], s[0:1] offset:4096 scale_offset
	s_endpgm
	.section	.rodata,"a",@progbits
	.p2align	6, 0x0
	.amdhsa_kernel _Z6kernelI18blocked_to_stripedN15benchmark_utils11custom_typeIddEELj256ELj2ELj100EEvPKT0_PKjPS4_
		.amdhsa_group_segment_fixed_size 8448
		.amdhsa_private_segment_fixed_size 0
		.amdhsa_kernarg_size 24
		.amdhsa_user_sgpr_count 2
		.amdhsa_user_sgpr_dispatch_ptr 0
		.amdhsa_user_sgpr_queue_ptr 0
		.amdhsa_user_sgpr_kernarg_segment_ptr 1
		.amdhsa_user_sgpr_dispatch_id 0
		.amdhsa_user_sgpr_kernarg_preload_length 0
		.amdhsa_user_sgpr_kernarg_preload_offset 0
		.amdhsa_user_sgpr_private_segment_size 0
		.amdhsa_wavefront_size32 1
		.amdhsa_uses_dynamic_stack 0
		.amdhsa_enable_private_segment 0
		.amdhsa_system_sgpr_workgroup_id_x 1
		.amdhsa_system_sgpr_workgroup_id_y 0
		.amdhsa_system_sgpr_workgroup_id_z 0
		.amdhsa_system_sgpr_workgroup_info 0
		.amdhsa_system_vgpr_workitem_id 0
		.amdhsa_next_free_vgpr 15
		.amdhsa_next_free_sgpr 7
		.amdhsa_named_barrier_count 0
		.amdhsa_reserve_vcc 0
		.amdhsa_float_round_mode_32 0
		.amdhsa_float_round_mode_16_64 0
		.amdhsa_float_denorm_mode_32 3
		.amdhsa_float_denorm_mode_16_64 3
		.amdhsa_fp16_overflow 0
		.amdhsa_memory_ordered 1
		.amdhsa_forward_progress 1
		.amdhsa_inst_pref_size 3
		.amdhsa_round_robin_scheduling 0
		.amdhsa_exception_fp_ieee_invalid_op 0
		.amdhsa_exception_fp_denorm_src 0
		.amdhsa_exception_fp_ieee_div_zero 0
		.amdhsa_exception_fp_ieee_overflow 0
		.amdhsa_exception_fp_ieee_underflow 0
		.amdhsa_exception_fp_ieee_inexact 0
		.amdhsa_exception_int_div_zero 0
	.end_amdhsa_kernel
	.section	.text._Z6kernelI18blocked_to_stripedN15benchmark_utils11custom_typeIddEELj256ELj2ELj100EEvPKT0_PKjPS4_,"axG",@progbits,_Z6kernelI18blocked_to_stripedN15benchmark_utils11custom_typeIddEELj256ELj2ELj100EEvPKT0_PKjPS4_,comdat
.Lfunc_end25:
	.size	_Z6kernelI18blocked_to_stripedN15benchmark_utils11custom_typeIddEELj256ELj2ELj100EEvPKT0_PKjPS4_, .Lfunc_end25-_Z6kernelI18blocked_to_stripedN15benchmark_utils11custom_typeIddEELj256ELj2ELj100EEvPKT0_PKjPS4_
                                        ; -- End function
	.set _Z6kernelI18blocked_to_stripedN15benchmark_utils11custom_typeIddEELj256ELj2ELj100EEvPKT0_PKjPS4_.num_vgpr, 15
	.set _Z6kernelI18blocked_to_stripedN15benchmark_utils11custom_typeIddEELj256ELj2ELj100EEvPKT0_PKjPS4_.num_agpr, 0
	.set _Z6kernelI18blocked_to_stripedN15benchmark_utils11custom_typeIddEELj256ELj2ELj100EEvPKT0_PKjPS4_.numbered_sgpr, 7
	.set _Z6kernelI18blocked_to_stripedN15benchmark_utils11custom_typeIddEELj256ELj2ELj100EEvPKT0_PKjPS4_.num_named_barrier, 0
	.set _Z6kernelI18blocked_to_stripedN15benchmark_utils11custom_typeIddEELj256ELj2ELj100EEvPKT0_PKjPS4_.private_seg_size, 0
	.set _Z6kernelI18blocked_to_stripedN15benchmark_utils11custom_typeIddEELj256ELj2ELj100EEvPKT0_PKjPS4_.uses_vcc, 0
	.set _Z6kernelI18blocked_to_stripedN15benchmark_utils11custom_typeIddEELj256ELj2ELj100EEvPKT0_PKjPS4_.uses_flat_scratch, 0
	.set _Z6kernelI18blocked_to_stripedN15benchmark_utils11custom_typeIddEELj256ELj2ELj100EEvPKT0_PKjPS4_.has_dyn_sized_stack, 0
	.set _Z6kernelI18blocked_to_stripedN15benchmark_utils11custom_typeIddEELj256ELj2ELj100EEvPKT0_PKjPS4_.has_recursion, 0
	.set _Z6kernelI18blocked_to_stripedN15benchmark_utils11custom_typeIddEELj256ELj2ELj100EEvPKT0_PKjPS4_.has_indirect_call, 0
	.section	.AMDGPU.csdata,"",@progbits
; Kernel info:
; codeLenInByte = 292
; TotalNumSgprs: 7
; NumVgprs: 15
; ScratchSize: 0
; MemoryBound: 0
; FloatMode: 240
; IeeeMode: 1
; LDSByteSize: 8448 bytes/workgroup (compile time only)
; SGPRBlocks: 0
; VGPRBlocks: 0
; NumSGPRsForWavesPerEU: 7
; NumVGPRsForWavesPerEU: 15
; NamedBarCnt: 0
; Occupancy: 16
; WaveLimiterHint : 1
; COMPUTE_PGM_RSRC2:SCRATCH_EN: 0
; COMPUTE_PGM_RSRC2:USER_SGPR: 2
; COMPUTE_PGM_RSRC2:TRAP_HANDLER: 0
; COMPUTE_PGM_RSRC2:TGID_X_EN: 1
; COMPUTE_PGM_RSRC2:TGID_Y_EN: 0
; COMPUTE_PGM_RSRC2:TGID_Z_EN: 0
; COMPUTE_PGM_RSRC2:TIDIG_COMP_CNT: 0
	.section	.text._Z6kernelI18blocked_to_stripedN15benchmark_utils11custom_typeIddEELj256ELj3ELj100EEvPKT0_PKjPS4_,"axG",@progbits,_Z6kernelI18blocked_to_stripedN15benchmark_utils11custom_typeIddEELj256ELj3ELj100EEvPKT0_PKjPS4_,comdat
	.protected	_Z6kernelI18blocked_to_stripedN15benchmark_utils11custom_typeIddEELj256ELj3ELj100EEvPKT0_PKjPS4_ ; -- Begin function _Z6kernelI18blocked_to_stripedN15benchmark_utils11custom_typeIddEELj256ELj3ELj100EEvPKT0_PKjPS4_
	.globl	_Z6kernelI18blocked_to_stripedN15benchmark_utils11custom_typeIddEELj256ELj3ELj100EEvPKT0_PKjPS4_
	.p2align	8
	.type	_Z6kernelI18blocked_to_stripedN15benchmark_utils11custom_typeIddEELj256ELj3ELj100EEvPKT0_PKjPS4_,@function
_Z6kernelI18blocked_to_stripedN15benchmark_utils11custom_typeIddEELj256ELj3ELj100EEvPKT0_PKjPS4_: ; @_Z6kernelI18blocked_to_stripedN15benchmark_utils11custom_typeIddEELj256ELj3ELj100EEvPKT0_PKjPS4_
; %bb.0:
	s_load_b64 s[4:5], s[0:1], 0x0
	s_bfe_u32 s2, ttmp6, 0x4000c
	s_and_b32 s3, ttmp6, 15
	s_add_co_i32 s2, s2, 1
	s_getreg_b32 s6, hwreg(HW_REG_IB_STS2, 6, 4)
	s_mul_i32 s2, ttmp9, s2
	v_mul_u32_u24_e32 v1, 3, v0
	s_add_co_i32 s3, s3, s2
	s_cmp_eq_u32 s6, 0
	v_lshlrev_b32_e32 v14, 5, v0
	s_cselect_b32 s2, ttmp9, s3
	s_mov_b32 s3, 0
	s_mulk_i32 s2, 0x300
	s_delay_alu instid0(SALU_CYCLE_1)
	s_lshl_b64 s[2:3], s[2:3], 4
	s_wait_kmcnt 0x0
	s_add_nc_u64 s[4:5], s[4:5], s[2:3]
	s_clause 0x2
	global_load_b128 v[2:5], v1, s[4:5] offset:32 scale_offset
	global_load_b128 v[6:9], v1, s[4:5] offset:16 scale_offset
	global_load_b128 v[10:13], v1, s[4:5] scale_offset
	s_wait_xcnt 0x0
	v_dual_lshlrev_b32 v1, 4, v1 :: v_dual_sub_nc_u32 v14, 0, v14
	s_movk_i32 s4, 0x64
	s_delay_alu instid0(VALU_DEP_1)
	v_add_nc_u32_e32 v14, v1, v14
.LBB26_1:                               ; =>This Inner Loop Header: Depth=1
	s_wait_loadcnt 0x0
	ds_store_b128 v1, v[10:13]
	ds_store_b128 v1, v[6:9] offset:16
	ds_store_b128 v1, v[2:5] offset:32
	s_wait_dscnt 0x0
	s_barrier_signal -1
	s_barrier_wait -1
	ds_load_b128 v[10:13], v14
	ds_load_b128 v[6:9], v14 offset:4096
	ds_load_b128 v[2:5], v14 offset:8192
	s_add_co_i32 s4, s4, -1
	s_wait_dscnt 0x0
	s_cmp_lg_u32 s4, 0
	s_barrier_signal -1
	s_barrier_wait -1
	s_cbranch_scc1 .LBB26_1
; %bb.2:
	s_load_b64 s[0:1], s[0:1], 0x10
	s_wait_kmcnt 0x0
	s_add_nc_u64 s[0:1], s[0:1], s[2:3]
	s_clause 0x2
	global_store_b128 v0, v[10:13], s[0:1] scale_offset
	global_store_b128 v0, v[6:9], s[0:1] offset:4096 scale_offset
	global_store_b128 v0, v[2:5], s[0:1] offset:8192 scale_offset
	s_endpgm
	.section	.rodata,"a",@progbits
	.p2align	6, 0x0
	.amdhsa_kernel _Z6kernelI18blocked_to_stripedN15benchmark_utils11custom_typeIddEELj256ELj3ELj100EEvPKT0_PKjPS4_
		.amdhsa_group_segment_fixed_size 12288
		.amdhsa_private_segment_fixed_size 0
		.amdhsa_kernarg_size 24
		.amdhsa_user_sgpr_count 2
		.amdhsa_user_sgpr_dispatch_ptr 0
		.amdhsa_user_sgpr_queue_ptr 0
		.amdhsa_user_sgpr_kernarg_segment_ptr 1
		.amdhsa_user_sgpr_dispatch_id 0
		.amdhsa_user_sgpr_kernarg_preload_length 0
		.amdhsa_user_sgpr_kernarg_preload_offset 0
		.amdhsa_user_sgpr_private_segment_size 0
		.amdhsa_wavefront_size32 1
		.amdhsa_uses_dynamic_stack 0
		.amdhsa_enable_private_segment 0
		.amdhsa_system_sgpr_workgroup_id_x 1
		.amdhsa_system_sgpr_workgroup_id_y 0
		.amdhsa_system_sgpr_workgroup_id_z 0
		.amdhsa_system_sgpr_workgroup_info 0
		.amdhsa_system_vgpr_workitem_id 0
		.amdhsa_next_free_vgpr 15
		.amdhsa_next_free_sgpr 7
		.amdhsa_named_barrier_count 0
		.amdhsa_reserve_vcc 0
		.amdhsa_float_round_mode_32 0
		.amdhsa_float_round_mode_16_64 0
		.amdhsa_float_denorm_mode_32 3
		.amdhsa_float_denorm_mode_16_64 3
		.amdhsa_fp16_overflow 0
		.amdhsa_memory_ordered 1
		.amdhsa_forward_progress 1
		.amdhsa_inst_pref_size 3
		.amdhsa_round_robin_scheduling 0
		.amdhsa_exception_fp_ieee_invalid_op 0
		.amdhsa_exception_fp_denorm_src 0
		.amdhsa_exception_fp_ieee_div_zero 0
		.amdhsa_exception_fp_ieee_overflow 0
		.amdhsa_exception_fp_ieee_underflow 0
		.amdhsa_exception_fp_ieee_inexact 0
		.amdhsa_exception_int_div_zero 0
	.end_amdhsa_kernel
	.section	.text._Z6kernelI18blocked_to_stripedN15benchmark_utils11custom_typeIddEELj256ELj3ELj100EEvPKT0_PKjPS4_,"axG",@progbits,_Z6kernelI18blocked_to_stripedN15benchmark_utils11custom_typeIddEELj256ELj3ELj100EEvPKT0_PKjPS4_,comdat
.Lfunc_end26:
	.size	_Z6kernelI18blocked_to_stripedN15benchmark_utils11custom_typeIddEELj256ELj3ELj100EEvPKT0_PKjPS4_, .Lfunc_end26-_Z6kernelI18blocked_to_stripedN15benchmark_utils11custom_typeIddEELj256ELj3ELj100EEvPKT0_PKjPS4_
                                        ; -- End function
	.set _Z6kernelI18blocked_to_stripedN15benchmark_utils11custom_typeIddEELj256ELj3ELj100EEvPKT0_PKjPS4_.num_vgpr, 15
	.set _Z6kernelI18blocked_to_stripedN15benchmark_utils11custom_typeIddEELj256ELj3ELj100EEvPKT0_PKjPS4_.num_agpr, 0
	.set _Z6kernelI18blocked_to_stripedN15benchmark_utils11custom_typeIddEELj256ELj3ELj100EEvPKT0_PKjPS4_.numbered_sgpr, 7
	.set _Z6kernelI18blocked_to_stripedN15benchmark_utils11custom_typeIddEELj256ELj3ELj100EEvPKT0_PKjPS4_.num_named_barrier, 0
	.set _Z6kernelI18blocked_to_stripedN15benchmark_utils11custom_typeIddEELj256ELj3ELj100EEvPKT0_PKjPS4_.private_seg_size, 0
	.set _Z6kernelI18blocked_to_stripedN15benchmark_utils11custom_typeIddEELj256ELj3ELj100EEvPKT0_PKjPS4_.uses_vcc, 0
	.set _Z6kernelI18blocked_to_stripedN15benchmark_utils11custom_typeIddEELj256ELj3ELj100EEvPKT0_PKjPS4_.uses_flat_scratch, 0
	.set _Z6kernelI18blocked_to_stripedN15benchmark_utils11custom_typeIddEELj256ELj3ELj100EEvPKT0_PKjPS4_.has_dyn_sized_stack, 0
	.set _Z6kernelI18blocked_to_stripedN15benchmark_utils11custom_typeIddEELj256ELj3ELj100EEvPKT0_PKjPS4_.has_recursion, 0
	.set _Z6kernelI18blocked_to_stripedN15benchmark_utils11custom_typeIddEELj256ELj3ELj100EEvPKT0_PKjPS4_.has_indirect_call, 0
	.section	.AMDGPU.csdata,"",@progbits
; Kernel info:
; codeLenInByte = 292
; TotalNumSgprs: 7
; NumVgprs: 15
; ScratchSize: 0
; MemoryBound: 1
; FloatMode: 240
; IeeeMode: 1
; LDSByteSize: 12288 bytes/workgroup (compile time only)
; SGPRBlocks: 0
; VGPRBlocks: 0
; NumSGPRsForWavesPerEU: 7
; NumVGPRsForWavesPerEU: 15
; NamedBarCnt: 0
; Occupancy: 16
; WaveLimiterHint : 1
; COMPUTE_PGM_RSRC2:SCRATCH_EN: 0
; COMPUTE_PGM_RSRC2:USER_SGPR: 2
; COMPUTE_PGM_RSRC2:TRAP_HANDLER: 0
; COMPUTE_PGM_RSRC2:TGID_X_EN: 1
; COMPUTE_PGM_RSRC2:TGID_Y_EN: 0
; COMPUTE_PGM_RSRC2:TGID_Z_EN: 0
; COMPUTE_PGM_RSRC2:TIDIG_COMP_CNT: 0
	.section	.text._Z6kernelI18blocked_to_stripedN15benchmark_utils11custom_typeIddEELj256ELj4ELj100EEvPKT0_PKjPS4_,"axG",@progbits,_Z6kernelI18blocked_to_stripedN15benchmark_utils11custom_typeIddEELj256ELj4ELj100EEvPKT0_PKjPS4_,comdat
	.protected	_Z6kernelI18blocked_to_stripedN15benchmark_utils11custom_typeIddEELj256ELj4ELj100EEvPKT0_PKjPS4_ ; -- Begin function _Z6kernelI18blocked_to_stripedN15benchmark_utils11custom_typeIddEELj256ELj4ELj100EEvPKT0_PKjPS4_
	.globl	_Z6kernelI18blocked_to_stripedN15benchmark_utils11custom_typeIddEELj256ELj4ELj100EEvPKT0_PKjPS4_
	.p2align	8
	.type	_Z6kernelI18blocked_to_stripedN15benchmark_utils11custom_typeIddEELj256ELj4ELj100EEvPKT0_PKjPS4_,@function
_Z6kernelI18blocked_to_stripedN15benchmark_utils11custom_typeIddEELj256ELj4ELj100EEvPKT0_PKjPS4_: ; @_Z6kernelI18blocked_to_stripedN15benchmark_utils11custom_typeIddEELj256ELj4ELj100EEvPKT0_PKjPS4_
; %bb.0:
	s_load_b64 s[4:5], s[0:1], 0x0
	s_bfe_u32 s2, ttmp6, 0x4000c
	s_and_b32 s3, ttmp6, 15
	s_add_co_i32 s2, s2, 1
	s_getreg_b32 s6, hwreg(HW_REG_IB_STS2, 6, 4)
	s_mul_i32 s2, ttmp9, s2
	v_dual_lshlrev_b32 v1, 6, v0 :: v_dual_lshlrev_b32 v18, 1, v0
	s_add_co_i32 s3, s3, s2
	s_cmp_eq_u32 s6, 0
	v_or_b32_e32 v19, 0x100, v0
	s_cselect_b32 s2, ttmp9, s3
	s_mov_b32 s3, 0
	s_lshl_b32 s2, s2, 10
	v_or_b32_e32 v20, 0x200, v0
	s_lshl_b64 s[2:3], s[2:3], 4
	v_or_b32_e32 v21, 0x300, v0
	v_dual_lshrrev_b32 v22, 1, v0 :: v_dual_lshrrev_b32 v19, 1, v19
	s_delay_alu instid0(VALU_DEP_3)
	v_lshrrev_b32_e32 v20, 1, v20
	s_wait_kmcnt 0x0
	s_add_nc_u64 s[4:5], s[4:5], s[2:3]
	v_lshrrev_b32_e32 v21, 1, v21
	s_clause 0x3
	global_load_b128 v[2:5], v1, s[4:5] offset:48
	global_load_b128 v[6:9], v1, s[4:5] offset:32
	;; [unrolled: 1-line block ×3, first 2 shown]
	global_load_b128 v[14:17], v1, s[4:5]
	v_and_b32_e32 v18, 0x1f0, v18
	v_and_b32_e32 v22, 0x70, v22
	v_lshlrev_b32_e32 v23, 4, v0
	v_and_b32_e32 v19, 0xf0, v19
	v_and_b32_e32 v20, 0x170, v20
	;; [unrolled: 1-line block ×3, first 2 shown]
	s_wait_xcnt 0x0
	v_add_nc_u32_e32 v1, v18, v1
	v_dual_add_nc_u32 v18, v22, v23 :: v_dual_add_nc_u32 v19, v19, v23
	s_delay_alu instid0(VALU_DEP_3)
	v_dual_add_nc_u32 v20, v20, v23 :: v_dual_add_nc_u32 v21, v21, v23
	s_movk_i32 s4, 0x64
.LBB27_1:                               ; =>This Inner Loop Header: Depth=1
	s_wait_loadcnt 0x0
	ds_store_b128 v1, v[14:17]
	ds_store_b128 v1, v[10:13] offset:16
	ds_store_b128 v1, v[6:9] offset:32
	;; [unrolled: 1-line block ×3, first 2 shown]
	s_wait_dscnt 0x0
	s_barrier_signal -1
	s_barrier_wait -1
	ds_load_b128 v[14:17], v18
	ds_load_b128 v[10:13], v19 offset:4096
	ds_load_b128 v[6:9], v20 offset:8192
	;; [unrolled: 1-line block ×3, first 2 shown]
	s_add_co_i32 s4, s4, -1
	s_wait_dscnt 0x0
	s_cmp_lg_u32 s4, 0
	s_barrier_signal -1
	s_barrier_wait -1
	s_cbranch_scc1 .LBB27_1
; %bb.2:
	s_load_b64 s[0:1], s[0:1], 0x10
	s_wait_kmcnt 0x0
	s_add_nc_u64 s[0:1], s[0:1], s[2:3]
	s_clause 0x3
	global_store_b128 v0, v[14:17], s[0:1] scale_offset
	global_store_b128 v0, v[10:13], s[0:1] offset:4096 scale_offset
	global_store_b128 v0, v[6:9], s[0:1] offset:8192 scale_offset
	;; [unrolled: 1-line block ×3, first 2 shown]
	s_endpgm
	.section	.rodata,"a",@progbits
	.p2align	6, 0x0
	.amdhsa_kernel _Z6kernelI18blocked_to_stripedN15benchmark_utils11custom_typeIddEELj256ELj4ELj100EEvPKT0_PKjPS4_
		.amdhsa_group_segment_fixed_size 16896
		.amdhsa_private_segment_fixed_size 0
		.amdhsa_kernarg_size 24
		.amdhsa_user_sgpr_count 2
		.amdhsa_user_sgpr_dispatch_ptr 0
		.amdhsa_user_sgpr_queue_ptr 0
		.amdhsa_user_sgpr_kernarg_segment_ptr 1
		.amdhsa_user_sgpr_dispatch_id 0
		.amdhsa_user_sgpr_kernarg_preload_length 0
		.amdhsa_user_sgpr_kernarg_preload_offset 0
		.amdhsa_user_sgpr_private_segment_size 0
		.amdhsa_wavefront_size32 1
		.amdhsa_uses_dynamic_stack 0
		.amdhsa_enable_private_segment 0
		.amdhsa_system_sgpr_workgroup_id_x 1
		.amdhsa_system_sgpr_workgroup_id_y 0
		.amdhsa_system_sgpr_workgroup_id_z 0
		.amdhsa_system_sgpr_workgroup_info 0
		.amdhsa_system_vgpr_workitem_id 0
		.amdhsa_next_free_vgpr 24
		.amdhsa_next_free_sgpr 7
		.amdhsa_named_barrier_count 0
		.amdhsa_reserve_vcc 0
		.amdhsa_float_round_mode_32 0
		.amdhsa_float_round_mode_16_64 0
		.amdhsa_float_denorm_mode_32 3
		.amdhsa_float_denorm_mode_16_64 3
		.amdhsa_fp16_overflow 0
		.amdhsa_memory_ordered 1
		.amdhsa_forward_progress 1
		.amdhsa_inst_pref_size 4
		.amdhsa_round_robin_scheduling 0
		.amdhsa_exception_fp_ieee_invalid_op 0
		.amdhsa_exception_fp_denorm_src 0
		.amdhsa_exception_fp_ieee_div_zero 0
		.amdhsa_exception_fp_ieee_overflow 0
		.amdhsa_exception_fp_ieee_underflow 0
		.amdhsa_exception_fp_ieee_inexact 0
		.amdhsa_exception_int_div_zero 0
	.end_amdhsa_kernel
	.section	.text._Z6kernelI18blocked_to_stripedN15benchmark_utils11custom_typeIddEELj256ELj4ELj100EEvPKT0_PKjPS4_,"axG",@progbits,_Z6kernelI18blocked_to_stripedN15benchmark_utils11custom_typeIddEELj256ELj4ELj100EEvPKT0_PKjPS4_,comdat
.Lfunc_end27:
	.size	_Z6kernelI18blocked_to_stripedN15benchmark_utils11custom_typeIddEELj256ELj4ELj100EEvPKT0_PKjPS4_, .Lfunc_end27-_Z6kernelI18blocked_to_stripedN15benchmark_utils11custom_typeIddEELj256ELj4ELj100EEvPKT0_PKjPS4_
                                        ; -- End function
	.set _Z6kernelI18blocked_to_stripedN15benchmark_utils11custom_typeIddEELj256ELj4ELj100EEvPKT0_PKjPS4_.num_vgpr, 24
	.set _Z6kernelI18blocked_to_stripedN15benchmark_utils11custom_typeIddEELj256ELj4ELj100EEvPKT0_PKjPS4_.num_agpr, 0
	.set _Z6kernelI18blocked_to_stripedN15benchmark_utils11custom_typeIddEELj256ELj4ELj100EEvPKT0_PKjPS4_.numbered_sgpr, 7
	.set _Z6kernelI18blocked_to_stripedN15benchmark_utils11custom_typeIddEELj256ELj4ELj100EEvPKT0_PKjPS4_.num_named_barrier, 0
	.set _Z6kernelI18blocked_to_stripedN15benchmark_utils11custom_typeIddEELj256ELj4ELj100EEvPKT0_PKjPS4_.private_seg_size, 0
	.set _Z6kernelI18blocked_to_stripedN15benchmark_utils11custom_typeIddEELj256ELj4ELj100EEvPKT0_PKjPS4_.uses_vcc, 0
	.set _Z6kernelI18blocked_to_stripedN15benchmark_utils11custom_typeIddEELj256ELj4ELj100EEvPKT0_PKjPS4_.uses_flat_scratch, 0
	.set _Z6kernelI18blocked_to_stripedN15benchmark_utils11custom_typeIddEELj256ELj4ELj100EEvPKT0_PKjPS4_.has_dyn_sized_stack, 0
	.set _Z6kernelI18blocked_to_stripedN15benchmark_utils11custom_typeIddEELj256ELj4ELj100EEvPKT0_PKjPS4_.has_recursion, 0
	.set _Z6kernelI18blocked_to_stripedN15benchmark_utils11custom_typeIddEELj256ELj4ELj100EEvPKT0_PKjPS4_.has_indirect_call, 0
	.section	.AMDGPU.csdata,"",@progbits
; Kernel info:
; codeLenInByte = 436
; TotalNumSgprs: 7
; NumVgprs: 24
; ScratchSize: 0
; MemoryBound: 0
; FloatMode: 240
; IeeeMode: 1
; LDSByteSize: 16896 bytes/workgroup (compile time only)
; SGPRBlocks: 0
; VGPRBlocks: 1
; NumSGPRsForWavesPerEU: 7
; NumVGPRsForWavesPerEU: 24
; NamedBarCnt: 0
; Occupancy: 16
; WaveLimiterHint : 1
; COMPUTE_PGM_RSRC2:SCRATCH_EN: 0
; COMPUTE_PGM_RSRC2:USER_SGPR: 2
; COMPUTE_PGM_RSRC2:TRAP_HANDLER: 0
; COMPUTE_PGM_RSRC2:TGID_X_EN: 1
; COMPUTE_PGM_RSRC2:TGID_Y_EN: 0
; COMPUTE_PGM_RSRC2:TGID_Z_EN: 0
; COMPUTE_PGM_RSRC2:TIDIG_COMP_CNT: 0
	.section	.text._Z6kernelI18blocked_to_stripedN15benchmark_utils11custom_typeIddEELj256ELj7ELj100EEvPKT0_PKjPS4_,"axG",@progbits,_Z6kernelI18blocked_to_stripedN15benchmark_utils11custom_typeIddEELj256ELj7ELj100EEvPKT0_PKjPS4_,comdat
	.protected	_Z6kernelI18blocked_to_stripedN15benchmark_utils11custom_typeIddEELj256ELj7ELj100EEvPKT0_PKjPS4_ ; -- Begin function _Z6kernelI18blocked_to_stripedN15benchmark_utils11custom_typeIddEELj256ELj7ELj100EEvPKT0_PKjPS4_
	.globl	_Z6kernelI18blocked_to_stripedN15benchmark_utils11custom_typeIddEELj256ELj7ELj100EEvPKT0_PKjPS4_
	.p2align	8
	.type	_Z6kernelI18blocked_to_stripedN15benchmark_utils11custom_typeIddEELj256ELj7ELj100EEvPKT0_PKjPS4_,@function
_Z6kernelI18blocked_to_stripedN15benchmark_utils11custom_typeIddEELj256ELj7ELj100EEvPKT0_PKjPS4_: ; @_Z6kernelI18blocked_to_stripedN15benchmark_utils11custom_typeIddEELj256ELj7ELj100EEvPKT0_PKjPS4_
; %bb.0:
	s_load_b64 s[4:5], s[0:1], 0x0
	s_bfe_u32 s2, ttmp6, 0x4000c
	s_and_b32 s3, ttmp6, 15
	s_add_co_i32 s2, s2, 1
	s_getreg_b32 s6, hwreg(HW_REG_IB_STS2, 6, 4)
	s_mul_i32 s2, ttmp9, s2
	v_mul_u32_u24_e32 v1, 7, v0
	s_add_co_i32 s3, s3, s2
	s_cmp_eq_u32 s6, 0
	v_mul_i32_i24_e32 v30, 0xffffffa0, v0
	s_cselect_b32 s2, ttmp9, s3
	s_mov_b32 s3, 0
	s_mulk_i32 s2, 0x700
	s_delay_alu instid0(SALU_CYCLE_1)
	s_lshl_b64 s[2:3], s[2:3], 4
	s_wait_kmcnt 0x0
	s_add_nc_u64 s[4:5], s[4:5], s[2:3]
	s_clause 0x6
	global_load_b128 v[2:5], v1, s[4:5] offset:48 scale_offset
	global_load_b128 v[6:9], v1, s[4:5] offset:32 scale_offset
	;; [unrolled: 1-line block ×3, first 2 shown]
	global_load_b128 v[14:17], v1, s[4:5] scale_offset
	global_load_b128 v[18:21], v1, s[4:5] offset:96 scale_offset
	global_load_b128 v[22:25], v1, s[4:5] offset:80 scale_offset
	;; [unrolled: 1-line block ×3, first 2 shown]
	s_wait_xcnt 0x0
	v_lshlrev_b32_e32 v1, 4, v1
	s_movk_i32 s4, 0x64
	s_delay_alu instid0(VALU_DEP_1)
	v_add_nc_u32_e32 v30, v1, v30
.LBB28_1:                               ; =>This Inner Loop Header: Depth=1
	s_wait_loadcnt 0x3
	ds_store_b128 v1, v[14:17]
	ds_store_b128 v1, v[10:13] offset:16
	ds_store_b128 v1, v[6:9] offset:32
	;; [unrolled: 1-line block ×3, first 2 shown]
	s_wait_loadcnt 0x0
	ds_store_b128 v1, v[26:29] offset:64
	ds_store_b128 v1, v[22:25] offset:80
	;; [unrolled: 1-line block ×3, first 2 shown]
	s_wait_dscnt 0x0
	s_barrier_signal -1
	s_barrier_wait -1
	ds_load_b128 v[14:17], v30
	ds_load_b128 v[10:13], v30 offset:4096
	ds_load_b128 v[6:9], v30 offset:8192
	;; [unrolled: 1-line block ×6, first 2 shown]
	s_add_co_i32 s4, s4, -1
	s_wait_dscnt 0x0
	s_cmp_lg_u32 s4, 0
	s_barrier_signal -1
	s_barrier_wait -1
	s_cbranch_scc1 .LBB28_1
; %bb.2:
	s_load_b64 s[0:1], s[0:1], 0x10
	s_wait_kmcnt 0x0
	s_add_nc_u64 s[0:1], s[0:1], s[2:3]
	s_clause 0x6
	global_store_b128 v0, v[14:17], s[0:1] scale_offset
	global_store_b128 v0, v[10:13], s[0:1] offset:4096 scale_offset
	global_store_b128 v0, v[6:9], s[0:1] offset:8192 scale_offset
	;; [unrolled: 1-line block ×6, first 2 shown]
	s_endpgm
	.section	.rodata,"a",@progbits
	.p2align	6, 0x0
	.amdhsa_kernel _Z6kernelI18blocked_to_stripedN15benchmark_utils11custom_typeIddEELj256ELj7ELj100EEvPKT0_PKjPS4_
		.amdhsa_group_segment_fixed_size 28672
		.amdhsa_private_segment_fixed_size 0
		.amdhsa_kernarg_size 24
		.amdhsa_user_sgpr_count 2
		.amdhsa_user_sgpr_dispatch_ptr 0
		.amdhsa_user_sgpr_queue_ptr 0
		.amdhsa_user_sgpr_kernarg_segment_ptr 1
		.amdhsa_user_sgpr_dispatch_id 0
		.amdhsa_user_sgpr_kernarg_preload_length 0
		.amdhsa_user_sgpr_kernarg_preload_offset 0
		.amdhsa_user_sgpr_private_segment_size 0
		.amdhsa_wavefront_size32 1
		.amdhsa_uses_dynamic_stack 0
		.amdhsa_enable_private_segment 0
		.amdhsa_system_sgpr_workgroup_id_x 1
		.amdhsa_system_sgpr_workgroup_id_y 0
		.amdhsa_system_sgpr_workgroup_id_z 0
		.amdhsa_system_sgpr_workgroup_info 0
		.amdhsa_system_vgpr_workitem_id 0
		.amdhsa_next_free_vgpr 31
		.amdhsa_next_free_sgpr 7
		.amdhsa_named_barrier_count 0
		.amdhsa_reserve_vcc 0
		.amdhsa_float_round_mode_32 0
		.amdhsa_float_round_mode_16_64 0
		.amdhsa_float_denorm_mode_32 3
		.amdhsa_float_denorm_mode_16_64 3
		.amdhsa_fp16_overflow 0
		.amdhsa_memory_ordered 1
		.amdhsa_forward_progress 1
		.amdhsa_inst_pref_size 4
		.amdhsa_round_robin_scheduling 0
		.amdhsa_exception_fp_ieee_invalid_op 0
		.amdhsa_exception_fp_denorm_src 0
		.amdhsa_exception_fp_ieee_div_zero 0
		.amdhsa_exception_fp_ieee_overflow 0
		.amdhsa_exception_fp_ieee_underflow 0
		.amdhsa_exception_fp_ieee_inexact 0
		.amdhsa_exception_int_div_zero 0
	.end_amdhsa_kernel
	.section	.text._Z6kernelI18blocked_to_stripedN15benchmark_utils11custom_typeIddEELj256ELj7ELj100EEvPKT0_PKjPS4_,"axG",@progbits,_Z6kernelI18blocked_to_stripedN15benchmark_utils11custom_typeIddEELj256ELj7ELj100EEvPKT0_PKjPS4_,comdat
.Lfunc_end28:
	.size	_Z6kernelI18blocked_to_stripedN15benchmark_utils11custom_typeIddEELj256ELj7ELj100EEvPKT0_PKjPS4_, .Lfunc_end28-_Z6kernelI18blocked_to_stripedN15benchmark_utils11custom_typeIddEELj256ELj7ELj100EEvPKT0_PKjPS4_
                                        ; -- End function
	.set _Z6kernelI18blocked_to_stripedN15benchmark_utils11custom_typeIddEELj256ELj7ELj100EEvPKT0_PKjPS4_.num_vgpr, 31
	.set _Z6kernelI18blocked_to_stripedN15benchmark_utils11custom_typeIddEELj256ELj7ELj100EEvPKT0_PKjPS4_.num_agpr, 0
	.set _Z6kernelI18blocked_to_stripedN15benchmark_utils11custom_typeIddEELj256ELj7ELj100EEvPKT0_PKjPS4_.numbered_sgpr, 7
	.set _Z6kernelI18blocked_to_stripedN15benchmark_utils11custom_typeIddEELj256ELj7ELj100EEvPKT0_PKjPS4_.num_named_barrier, 0
	.set _Z6kernelI18blocked_to_stripedN15benchmark_utils11custom_typeIddEELj256ELj7ELj100EEvPKT0_PKjPS4_.private_seg_size, 0
	.set _Z6kernelI18blocked_to_stripedN15benchmark_utils11custom_typeIddEELj256ELj7ELj100EEvPKT0_PKjPS4_.uses_vcc, 0
	.set _Z6kernelI18blocked_to_stripedN15benchmark_utils11custom_typeIddEELj256ELj7ELj100EEvPKT0_PKjPS4_.uses_flat_scratch, 0
	.set _Z6kernelI18blocked_to_stripedN15benchmark_utils11custom_typeIddEELj256ELj7ELj100EEvPKT0_PKjPS4_.has_dyn_sized_stack, 0
	.set _Z6kernelI18blocked_to_stripedN15benchmark_utils11custom_typeIddEELj256ELj7ELj100EEvPKT0_PKjPS4_.has_recursion, 0
	.set _Z6kernelI18blocked_to_stripedN15benchmark_utils11custom_typeIddEELj256ELj7ELj100EEvPKT0_PKjPS4_.has_indirect_call, 0
	.section	.AMDGPU.csdata,"",@progbits
; Kernel info:
; codeLenInByte = 452
; TotalNumSgprs: 7
; NumVgprs: 31
; ScratchSize: 0
; MemoryBound: 1
; FloatMode: 240
; IeeeMode: 1
; LDSByteSize: 28672 bytes/workgroup (compile time only)
; SGPRBlocks: 0
; VGPRBlocks: 1
; NumSGPRsForWavesPerEU: 7
; NumVGPRsForWavesPerEU: 31
; NamedBarCnt: 0
; Occupancy: 16
; WaveLimiterHint : 1
; COMPUTE_PGM_RSRC2:SCRATCH_EN: 0
; COMPUTE_PGM_RSRC2:USER_SGPR: 2
; COMPUTE_PGM_RSRC2:TRAP_HANDLER: 0
; COMPUTE_PGM_RSRC2:TGID_X_EN: 1
; COMPUTE_PGM_RSRC2:TGID_Y_EN: 0
; COMPUTE_PGM_RSRC2:TGID_Z_EN: 0
; COMPUTE_PGM_RSRC2:TIDIG_COMP_CNT: 0
	.section	.text._Z6kernelI18blocked_to_stripedN15benchmark_utils11custom_typeIddEELj256ELj8ELj100EEvPKT0_PKjPS4_,"axG",@progbits,_Z6kernelI18blocked_to_stripedN15benchmark_utils11custom_typeIddEELj256ELj8ELj100EEvPKT0_PKjPS4_,comdat
	.protected	_Z6kernelI18blocked_to_stripedN15benchmark_utils11custom_typeIddEELj256ELj8ELj100EEvPKT0_PKjPS4_ ; -- Begin function _Z6kernelI18blocked_to_stripedN15benchmark_utils11custom_typeIddEELj256ELj8ELj100EEvPKT0_PKjPS4_
	.globl	_Z6kernelI18blocked_to_stripedN15benchmark_utils11custom_typeIddEELj256ELj8ELj100EEvPKT0_PKjPS4_
	.p2align	8
	.type	_Z6kernelI18blocked_to_stripedN15benchmark_utils11custom_typeIddEELj256ELj8ELj100EEvPKT0_PKjPS4_,@function
_Z6kernelI18blocked_to_stripedN15benchmark_utils11custom_typeIddEELj256ELj8ELj100EEvPKT0_PKjPS4_: ; @_Z6kernelI18blocked_to_stripedN15benchmark_utils11custom_typeIddEELj256ELj8ELj100EEvPKT0_PKjPS4_
; %bb.0:
	s_load_b64 s[4:5], s[0:1], 0x0
	s_bfe_u32 s2, ttmp6, 0x4000c
	s_and_b32 s3, ttmp6, 15
	s_add_co_i32 s2, s2, 1
	s_getreg_b32 s6, hwreg(HW_REG_IB_STS2, 6, 4)
	s_mul_i32 s2, ttmp9, s2
	v_dual_lshlrev_b32 v1, 7, v0 :: v_dual_lshlrev_b32 v36, 2, v0
	s_add_co_i32 s3, s3, s2
	s_cmp_eq_u32 s6, 0
	v_or_b32_e32 v34, 0x100, v0
	s_cselect_b32 s2, ttmp9, s3
	s_mov_b32 s3, 0
	s_lshl_b32 s2, s2, 11
	v_or_b32_e32 v35, 0x200, v0
	s_lshl_b64 s[2:3], s[2:3], 4
	v_dual_lshrrev_b32 v37, 1, v0 :: v_dual_lshrrev_b32 v34, 1, v34
	s_delay_alu instid0(VALU_DEP_2) | instskip(SKIP_2) | instid1(VALU_DEP_2)
	v_dual_lshlrev_b32 v41, 4, v0 :: v_dual_lshrrev_b32 v35, 1, v35
	s_wait_kmcnt 0x0
	s_add_nc_u64 s[4:5], s[4:5], s[2:3]
	v_and_b32_e32 v37, 0x70, v37
	s_clause 0x7
	global_load_b128 v[2:5], v1, s[4:5] offset:48
	global_load_b128 v[6:9], v1, s[4:5] offset:32
	;; [unrolled: 1-line block ×3, first 2 shown]
	global_load_b128 v[14:17], v1, s[4:5]
	global_load_b128 v[18:21], v1, s[4:5] offset:112
	global_load_b128 v[22:25], v1, s[4:5] offset:96
	;; [unrolled: 1-line block ×4, first 2 shown]
	v_and_b32_e32 v36, 0x3f0, v36
	v_and_b32_e32 v38, 0xf0, v34
	;; [unrolled: 1-line block ×3, first 2 shown]
	v_add_nc_u32_e32 v34, v37, v41
	v_or_b32_e32 v37, 0x300, v0
	v_or_b32_e32 v40, 0x600, v0
	v_add_nc_u32_e32 v35, v38, v41
	v_or_b32_e32 v38, 0x400, v0
	s_wait_xcnt 0x0
	v_add_nc_u32_e32 v1, v36, v1
	v_add_nc_u32_e32 v36, v39, v41
	v_or_b32_e32 v39, 0x500, v0
	v_or_b32_e32 v42, 0x700, v0
	v_dual_lshrrev_b32 v37, 1, v37 :: v_dual_lshrrev_b32 v40, 1, v40
	s_delay_alu instid0(VALU_DEP_3) | instskip(SKIP_1) | instid1(VALU_DEP_2)
	v_dual_lshrrev_b32 v38, 1, v38 :: v_dual_lshrrev_b32 v39, 1, v39
	s_movk_i32 s4, 0x64
	v_and_b32_e32 v37, 0x1f0, v37
	v_lshrrev_b32_e32 v42, 1, v42
	s_delay_alu instid0(VALU_DEP_3) | instskip(SKIP_4) | instid1(VALU_DEP_4)
	v_and_b32_e32 v38, 0x270, v38
	v_and_b32_e32 v39, 0x2f0, v39
	;; [unrolled: 1-line block ×3, first 2 shown]
	v_add_nc_u32_e32 v37, v37, v41
	v_and_b32_e32 v42, 0x3f0, v42
	v_dual_add_nc_u32 v38, v38, v41 :: v_dual_add_nc_u32 v39, v39, v41
	s_delay_alu instid0(VALU_DEP_2)
	v_dual_add_nc_u32 v40, v40, v41 :: v_dual_add_nc_u32 v41, v42, v41
.LBB29_1:                               ; =>This Inner Loop Header: Depth=1
	s_wait_loadcnt 0x4
	ds_store_b128 v1, v[14:17]
	ds_store_b128 v1, v[10:13] offset:16
	ds_store_b128 v1, v[6:9] offset:32
	;; [unrolled: 1-line block ×3, first 2 shown]
	s_wait_loadcnt 0x0
	ds_store_b128 v1, v[30:33] offset:64
	ds_store_b128 v1, v[26:29] offset:80
	;; [unrolled: 1-line block ×4, first 2 shown]
	s_wait_dscnt 0x0
	s_barrier_signal -1
	s_barrier_wait -1
	ds_load_b128 v[14:17], v34
	ds_load_b128 v[10:13], v35 offset:4096
	ds_load_b128 v[6:9], v36 offset:8192
	;; [unrolled: 1-line block ×7, first 2 shown]
	s_add_co_i32 s4, s4, -1
	s_wait_dscnt 0x0
	s_cmp_lg_u32 s4, 0
	s_barrier_signal -1
	s_barrier_wait -1
	s_cbranch_scc1 .LBB29_1
; %bb.2:
	s_load_b64 s[0:1], s[0:1], 0x10
	s_wait_kmcnt 0x0
	s_add_nc_u64 s[0:1], s[0:1], s[2:3]
	s_clause 0x7
	global_store_b128 v0, v[14:17], s[0:1] scale_offset
	global_store_b128 v0, v[10:13], s[0:1] offset:4096 scale_offset
	global_store_b128 v0, v[6:9], s[0:1] offset:8192 scale_offset
	global_store_b128 v0, v[2:5], s[0:1] offset:12288 scale_offset
	global_store_b128 v0, v[30:33], s[0:1] offset:16384 scale_offset
	global_store_b128 v0, v[26:29], s[0:1] offset:20480 scale_offset
	global_store_b128 v0, v[22:25], s[0:1] offset:24576 scale_offset
	global_store_b128 v0, v[18:21], s[0:1] offset:28672 scale_offset
	s_endpgm
	.section	.rodata,"a",@progbits
	.p2align	6, 0x0
	.amdhsa_kernel _Z6kernelI18blocked_to_stripedN15benchmark_utils11custom_typeIddEELj256ELj8ELj100EEvPKT0_PKjPS4_
		.amdhsa_group_segment_fixed_size 33792
		.amdhsa_private_segment_fixed_size 0
		.amdhsa_kernarg_size 24
		.amdhsa_user_sgpr_count 2
		.amdhsa_user_sgpr_dispatch_ptr 0
		.amdhsa_user_sgpr_queue_ptr 0
		.amdhsa_user_sgpr_kernarg_segment_ptr 1
		.amdhsa_user_sgpr_dispatch_id 0
		.amdhsa_user_sgpr_kernarg_preload_length 0
		.amdhsa_user_sgpr_kernarg_preload_offset 0
		.amdhsa_user_sgpr_private_segment_size 0
		.amdhsa_wavefront_size32 1
		.amdhsa_uses_dynamic_stack 0
		.amdhsa_enable_private_segment 0
		.amdhsa_system_sgpr_workgroup_id_x 1
		.amdhsa_system_sgpr_workgroup_id_y 0
		.amdhsa_system_sgpr_workgroup_id_z 0
		.amdhsa_system_sgpr_workgroup_info 0
		.amdhsa_system_vgpr_workitem_id 0
		.amdhsa_next_free_vgpr 43
		.amdhsa_next_free_sgpr 7
		.amdhsa_named_barrier_count 0
		.amdhsa_reserve_vcc 0
		.amdhsa_float_round_mode_32 0
		.amdhsa_float_round_mode_16_64 0
		.amdhsa_float_denorm_mode_32 3
		.amdhsa_float_denorm_mode_16_64 3
		.amdhsa_fp16_overflow 0
		.amdhsa_memory_ordered 1
		.amdhsa_forward_progress 1
		.amdhsa_inst_pref_size 6
		.amdhsa_round_robin_scheduling 0
		.amdhsa_exception_fp_ieee_invalid_op 0
		.amdhsa_exception_fp_denorm_src 0
		.amdhsa_exception_fp_ieee_div_zero 0
		.amdhsa_exception_fp_ieee_overflow 0
		.amdhsa_exception_fp_ieee_underflow 0
		.amdhsa_exception_fp_ieee_inexact 0
		.amdhsa_exception_int_div_zero 0
	.end_amdhsa_kernel
	.section	.text._Z6kernelI18blocked_to_stripedN15benchmark_utils11custom_typeIddEELj256ELj8ELj100EEvPKT0_PKjPS4_,"axG",@progbits,_Z6kernelI18blocked_to_stripedN15benchmark_utils11custom_typeIddEELj256ELj8ELj100EEvPKT0_PKjPS4_,comdat
.Lfunc_end29:
	.size	_Z6kernelI18blocked_to_stripedN15benchmark_utils11custom_typeIddEELj256ELj8ELj100EEvPKT0_PKjPS4_, .Lfunc_end29-_Z6kernelI18blocked_to_stripedN15benchmark_utils11custom_typeIddEELj256ELj8ELj100EEvPKT0_PKjPS4_
                                        ; -- End function
	.set _Z6kernelI18blocked_to_stripedN15benchmark_utils11custom_typeIddEELj256ELj8ELj100EEvPKT0_PKjPS4_.num_vgpr, 43
	.set _Z6kernelI18blocked_to_stripedN15benchmark_utils11custom_typeIddEELj256ELj8ELj100EEvPKT0_PKjPS4_.num_agpr, 0
	.set _Z6kernelI18blocked_to_stripedN15benchmark_utils11custom_typeIddEELj256ELj8ELj100EEvPKT0_PKjPS4_.numbered_sgpr, 7
	.set _Z6kernelI18blocked_to_stripedN15benchmark_utils11custom_typeIddEELj256ELj8ELj100EEvPKT0_PKjPS4_.num_named_barrier, 0
	.set _Z6kernelI18blocked_to_stripedN15benchmark_utils11custom_typeIddEELj256ELj8ELj100EEvPKT0_PKjPS4_.private_seg_size, 0
	.set _Z6kernelI18blocked_to_stripedN15benchmark_utils11custom_typeIddEELj256ELj8ELj100EEvPKT0_PKjPS4_.uses_vcc, 0
	.set _Z6kernelI18blocked_to_stripedN15benchmark_utils11custom_typeIddEELj256ELj8ELj100EEvPKT0_PKjPS4_.uses_flat_scratch, 0
	.set _Z6kernelI18blocked_to_stripedN15benchmark_utils11custom_typeIddEELj256ELj8ELj100EEvPKT0_PKjPS4_.has_dyn_sized_stack, 0
	.set _Z6kernelI18blocked_to_stripedN15benchmark_utils11custom_typeIddEELj256ELj8ELj100EEvPKT0_PKjPS4_.has_recursion, 0
	.set _Z6kernelI18blocked_to_stripedN15benchmark_utils11custom_typeIddEELj256ELj8ELj100EEvPKT0_PKjPS4_.has_indirect_call, 0
	.section	.AMDGPU.csdata,"",@progbits
; Kernel info:
; codeLenInByte = 716
; TotalNumSgprs: 7
; NumVgprs: 43
; ScratchSize: 0
; MemoryBound: 0
; FloatMode: 240
; IeeeMode: 1
; LDSByteSize: 33792 bytes/workgroup (compile time only)
; SGPRBlocks: 0
; VGPRBlocks: 2
; NumSGPRsForWavesPerEU: 7
; NumVGPRsForWavesPerEU: 43
; NamedBarCnt: 0
; Occupancy: 16
; WaveLimiterHint : 1
; COMPUTE_PGM_RSRC2:SCRATCH_EN: 0
; COMPUTE_PGM_RSRC2:USER_SGPR: 2
; COMPUTE_PGM_RSRC2:TRAP_HANDLER: 0
; COMPUTE_PGM_RSRC2:TGID_X_EN: 1
; COMPUTE_PGM_RSRC2:TGID_Y_EN: 0
; COMPUTE_PGM_RSRC2:TGID_Z_EN: 0
; COMPUTE_PGM_RSRC2:TIDIG_COMP_CNT: 0
	.section	.text._Z6kernelI18striped_to_blockediLj256ELj1ELj100EEvPKT0_PKjPS1_,"axG",@progbits,_Z6kernelI18striped_to_blockediLj256ELj1ELj100EEvPKT0_PKjPS1_,comdat
	.protected	_Z6kernelI18striped_to_blockediLj256ELj1ELj100EEvPKT0_PKjPS1_ ; -- Begin function _Z6kernelI18striped_to_blockediLj256ELj1ELj100EEvPKT0_PKjPS1_
	.globl	_Z6kernelI18striped_to_blockediLj256ELj1ELj100EEvPKT0_PKjPS1_
	.p2align	8
	.type	_Z6kernelI18striped_to_blockediLj256ELj1ELj100EEvPKT0_PKjPS1_,@function
_Z6kernelI18striped_to_blockediLj256ELj1ELj100EEvPKT0_PKjPS1_: ; @_Z6kernelI18striped_to_blockediLj256ELj1ELj100EEvPKT0_PKjPS1_
; %bb.0:
	s_load_b64 s[4:5], s[0:1], 0x0
	s_bfe_u32 s2, ttmp6, 0x4000c
	s_and_b32 s3, ttmp6, 15
	s_add_co_i32 s2, s2, 1
	s_getreg_b32 s6, hwreg(HW_REG_IB_STS2, 6, 4)
	s_mul_i32 s2, ttmp9, s2
	v_lshlrev_b32_e32 v1, 2, v0
	s_add_co_i32 s3, s3, s2
	s_cmp_eq_u32 s6, 0
	s_cselect_b32 s2, ttmp9, s3
	s_mov_b32 s3, 0
	s_lshl_b32 s2, s2, 8
	s_delay_alu instid0(SALU_CYCLE_1)
	s_lshl_b64 s[2:3], s[2:3], 2
	s_wait_kmcnt 0x0
	s_add_nc_u64 s[4:5], s[4:5], s[2:3]
	global_load_b32 v2, v0, s[4:5] scale_offset
	s_wait_xcnt 0x0
	s_movk_i32 s4, 0x64
.LBB30_1:                               ; =>This Inner Loop Header: Depth=1
	s_wait_loadcnt 0x0
	ds_store_b32 v1, v2
	s_wait_dscnt 0x0
	s_barrier_signal -1
	s_barrier_wait -1
	ds_load_b32 v2, v1
	s_add_co_i32 s4, s4, -1
	s_wait_dscnt 0x0
	s_cmp_lg_u32 s4, 0
	s_barrier_signal -1
	s_barrier_wait -1
	s_cbranch_scc1 .LBB30_1
; %bb.2:
	s_load_b64 s[0:1], s[0:1], 0x10
	s_wait_kmcnt 0x0
	s_add_nc_u64 s[0:1], s[0:1], s[2:3]
	global_store_b32 v0, v2, s[0:1] scale_offset
	s_endpgm
	.section	.rodata,"a",@progbits
	.p2align	6, 0x0
	.amdhsa_kernel _Z6kernelI18striped_to_blockediLj256ELj1ELj100EEvPKT0_PKjPS1_
		.amdhsa_group_segment_fixed_size 1024
		.amdhsa_private_segment_fixed_size 0
		.amdhsa_kernarg_size 24
		.amdhsa_user_sgpr_count 2
		.amdhsa_user_sgpr_dispatch_ptr 0
		.amdhsa_user_sgpr_queue_ptr 0
		.amdhsa_user_sgpr_kernarg_segment_ptr 1
		.amdhsa_user_sgpr_dispatch_id 0
		.amdhsa_user_sgpr_kernarg_preload_length 0
		.amdhsa_user_sgpr_kernarg_preload_offset 0
		.amdhsa_user_sgpr_private_segment_size 0
		.amdhsa_wavefront_size32 1
		.amdhsa_uses_dynamic_stack 0
		.amdhsa_enable_private_segment 0
		.amdhsa_system_sgpr_workgroup_id_x 1
		.amdhsa_system_sgpr_workgroup_id_y 0
		.amdhsa_system_sgpr_workgroup_id_z 0
		.amdhsa_system_sgpr_workgroup_info 0
		.amdhsa_system_vgpr_workitem_id 0
		.amdhsa_next_free_vgpr 3
		.amdhsa_next_free_sgpr 7
		.amdhsa_named_barrier_count 0
		.amdhsa_reserve_vcc 0
		.amdhsa_float_round_mode_32 0
		.amdhsa_float_round_mode_16_64 0
		.amdhsa_float_denorm_mode_32 3
		.amdhsa_float_denorm_mode_16_64 3
		.amdhsa_fp16_overflow 0
		.amdhsa_memory_ordered 1
		.amdhsa_forward_progress 1
		.amdhsa_inst_pref_size 2
		.amdhsa_round_robin_scheduling 0
		.amdhsa_exception_fp_ieee_invalid_op 0
		.amdhsa_exception_fp_denorm_src 0
		.amdhsa_exception_fp_ieee_div_zero 0
		.amdhsa_exception_fp_ieee_overflow 0
		.amdhsa_exception_fp_ieee_underflow 0
		.amdhsa_exception_fp_ieee_inexact 0
		.amdhsa_exception_int_div_zero 0
	.end_amdhsa_kernel
	.section	.text._Z6kernelI18striped_to_blockediLj256ELj1ELj100EEvPKT0_PKjPS1_,"axG",@progbits,_Z6kernelI18striped_to_blockediLj256ELj1ELj100EEvPKT0_PKjPS1_,comdat
.Lfunc_end30:
	.size	_Z6kernelI18striped_to_blockediLj256ELj1ELj100EEvPKT0_PKjPS1_, .Lfunc_end30-_Z6kernelI18striped_to_blockediLj256ELj1ELj100EEvPKT0_PKjPS1_
                                        ; -- End function
	.set _Z6kernelI18striped_to_blockediLj256ELj1ELj100EEvPKT0_PKjPS1_.num_vgpr, 3
	.set _Z6kernelI18striped_to_blockediLj256ELj1ELj100EEvPKT0_PKjPS1_.num_agpr, 0
	.set _Z6kernelI18striped_to_blockediLj256ELj1ELj100EEvPKT0_PKjPS1_.numbered_sgpr, 7
	.set _Z6kernelI18striped_to_blockediLj256ELj1ELj100EEvPKT0_PKjPS1_.num_named_barrier, 0
	.set _Z6kernelI18striped_to_blockediLj256ELj1ELj100EEvPKT0_PKjPS1_.private_seg_size, 0
	.set _Z6kernelI18striped_to_blockediLj256ELj1ELj100EEvPKT0_PKjPS1_.uses_vcc, 0
	.set _Z6kernelI18striped_to_blockediLj256ELj1ELj100EEvPKT0_PKjPS1_.uses_flat_scratch, 0
	.set _Z6kernelI18striped_to_blockediLj256ELj1ELj100EEvPKT0_PKjPS1_.has_dyn_sized_stack, 0
	.set _Z6kernelI18striped_to_blockediLj256ELj1ELj100EEvPKT0_PKjPS1_.has_recursion, 0
	.set _Z6kernelI18striped_to_blockediLj256ELj1ELj100EEvPKT0_PKjPS1_.has_indirect_call, 0
	.section	.AMDGPU.csdata,"",@progbits
; Kernel info:
; codeLenInByte = 180
; TotalNumSgprs: 7
; NumVgprs: 3
; ScratchSize: 0
; MemoryBound: 0
; FloatMode: 240
; IeeeMode: 1
; LDSByteSize: 1024 bytes/workgroup (compile time only)
; SGPRBlocks: 0
; VGPRBlocks: 0
; NumSGPRsForWavesPerEU: 7
; NumVGPRsForWavesPerEU: 3
; NamedBarCnt: 0
; Occupancy: 16
; WaveLimiterHint : 0
; COMPUTE_PGM_RSRC2:SCRATCH_EN: 0
; COMPUTE_PGM_RSRC2:USER_SGPR: 2
; COMPUTE_PGM_RSRC2:TRAP_HANDLER: 0
; COMPUTE_PGM_RSRC2:TGID_X_EN: 1
; COMPUTE_PGM_RSRC2:TGID_Y_EN: 0
; COMPUTE_PGM_RSRC2:TGID_Z_EN: 0
; COMPUTE_PGM_RSRC2:TIDIG_COMP_CNT: 0
	.section	.text._Z6kernelI18striped_to_blockediLj256ELj2ELj100EEvPKT0_PKjPS1_,"axG",@progbits,_Z6kernelI18striped_to_blockediLj256ELj2ELj100EEvPKT0_PKjPS1_,comdat
	.protected	_Z6kernelI18striped_to_blockediLj256ELj2ELj100EEvPKT0_PKjPS1_ ; -- Begin function _Z6kernelI18striped_to_blockediLj256ELj2ELj100EEvPKT0_PKjPS1_
	.globl	_Z6kernelI18striped_to_blockediLj256ELj2ELj100EEvPKT0_PKjPS1_
	.p2align	8
	.type	_Z6kernelI18striped_to_blockediLj256ELj2ELj100EEvPKT0_PKjPS1_,@function
_Z6kernelI18striped_to_blockediLj256ELj2ELj100EEvPKT0_PKjPS1_: ; @_Z6kernelI18striped_to_blockediLj256ELj2ELj100EEvPKT0_PKjPS1_
; %bb.0:
	s_load_b64 s[4:5], s[0:1], 0x0
	s_bfe_u32 s2, ttmp6, 0x4000c
	s_and_b32 s3, ttmp6, 15
	s_add_co_i32 s2, s2, 1
	s_getreg_b32 s6, hwreg(HW_REG_IB_STS2, 6, 4)
	s_mul_i32 s2, ttmp9, s2
	v_or_b32_e32 v1, 0x100, v0
	s_add_co_i32 s3, s3, s2
	s_cmp_eq_u32 s6, 0
	v_lshrrev_b32_e32 v4, 3, v0
	s_cselect_b32 s2, ttmp9, s3
	s_mov_b32 s3, 0
	s_lshl_b32 s2, s2, 9
	v_lshrrev_b32_e32 v1, 3, v1
	s_lshl_b64 s[2:3], s[2:3], 2
	v_dual_lshrrev_b32 v5, 2, v0 :: v_dual_lshlrev_b32 v6, 2, v0
	s_delay_alu instid0(VALU_DEP_2)
	v_and_b32_e32 v1, 60, v1
	v_and_b32_e32 v4, 28, v4
	s_wait_kmcnt 0x0
	s_add_nc_u64 s[4:5], s[4:5], s[2:3]
	v_and_b32_e32 v7, 60, v5
	s_clause 0x1
	global_load_b32 v2, v0, s[4:5] scale_offset
	global_load_b32 v3, v0, s[4:5] offset:1024 scale_offset
	v_dual_add_nc_u32 v5, v1, v6 :: v_dual_add_nc_u32 v4, v4, v6
	v_lshlrev_b32_e32 v1, 1, v0
	s_wait_xcnt 0x0
	v_lshl_add_u32 v0, v0, 3, v7
	s_movk_i32 s4, 0x64
.LBB31_1:                               ; =>This Inner Loop Header: Depth=1
	s_wait_loadcnt 0x1
	ds_store_b32 v4, v2
	s_wait_loadcnt 0x0
	ds_store_b32 v5, v3 offset:1024
	s_wait_dscnt 0x0
	s_barrier_signal -1
	s_barrier_wait -1
	ds_load_2addr_b32 v[2:3], v0 offset1:1
	s_add_co_i32 s4, s4, -1
	s_wait_dscnt 0x0
	s_cmp_lg_u32 s4, 0
	s_barrier_signal -1
	s_barrier_wait -1
	s_cbranch_scc1 .LBB31_1
; %bb.2:
	s_load_b64 s[0:1], s[0:1], 0x10
	v_lshlrev_b32_e32 v0, 2, v1
	s_wait_kmcnt 0x0
	s_add_nc_u64 s[0:1], s[0:1], s[2:3]
	global_store_b64 v0, v[2:3], s[0:1]
	s_endpgm
	.section	.rodata,"a",@progbits
	.p2align	6, 0x0
	.amdhsa_kernel _Z6kernelI18striped_to_blockediLj256ELj2ELj100EEvPKT0_PKjPS1_
		.amdhsa_group_segment_fixed_size 2112
		.amdhsa_private_segment_fixed_size 0
		.amdhsa_kernarg_size 24
		.amdhsa_user_sgpr_count 2
		.amdhsa_user_sgpr_dispatch_ptr 0
		.amdhsa_user_sgpr_queue_ptr 0
		.amdhsa_user_sgpr_kernarg_segment_ptr 1
		.amdhsa_user_sgpr_dispatch_id 0
		.amdhsa_user_sgpr_kernarg_preload_length 0
		.amdhsa_user_sgpr_kernarg_preload_offset 0
		.amdhsa_user_sgpr_private_segment_size 0
		.amdhsa_wavefront_size32 1
		.amdhsa_uses_dynamic_stack 0
		.amdhsa_enable_private_segment 0
		.amdhsa_system_sgpr_workgroup_id_x 1
		.amdhsa_system_sgpr_workgroup_id_y 0
		.amdhsa_system_sgpr_workgroup_id_z 0
		.amdhsa_system_sgpr_workgroup_info 0
		.amdhsa_system_vgpr_workitem_id 0
		.amdhsa_next_free_vgpr 8
		.amdhsa_next_free_sgpr 7
		.amdhsa_named_barrier_count 0
		.amdhsa_reserve_vcc 0
		.amdhsa_float_round_mode_32 0
		.amdhsa_float_round_mode_16_64 0
		.amdhsa_float_denorm_mode_32 3
		.amdhsa_float_denorm_mode_16_64 3
		.amdhsa_fp16_overflow 0
		.amdhsa_memory_ordered 1
		.amdhsa_forward_progress 1
		.amdhsa_inst_pref_size 3
		.amdhsa_round_robin_scheduling 0
		.amdhsa_exception_fp_ieee_invalid_op 0
		.amdhsa_exception_fp_denorm_src 0
		.amdhsa_exception_fp_ieee_div_zero 0
		.amdhsa_exception_fp_ieee_overflow 0
		.amdhsa_exception_fp_ieee_underflow 0
		.amdhsa_exception_fp_ieee_inexact 0
		.amdhsa_exception_int_div_zero 0
	.end_amdhsa_kernel
	.section	.text._Z6kernelI18striped_to_blockediLj256ELj2ELj100EEvPKT0_PKjPS1_,"axG",@progbits,_Z6kernelI18striped_to_blockediLj256ELj2ELj100EEvPKT0_PKjPS1_,comdat
.Lfunc_end31:
	.size	_Z6kernelI18striped_to_blockediLj256ELj2ELj100EEvPKT0_PKjPS1_, .Lfunc_end31-_Z6kernelI18striped_to_blockediLj256ELj2ELj100EEvPKT0_PKjPS1_
                                        ; -- End function
	.set _Z6kernelI18striped_to_blockediLj256ELj2ELj100EEvPKT0_PKjPS1_.num_vgpr, 8
	.set _Z6kernelI18striped_to_blockediLj256ELj2ELj100EEvPKT0_PKjPS1_.num_agpr, 0
	.set _Z6kernelI18striped_to_blockediLj256ELj2ELj100EEvPKT0_PKjPS1_.numbered_sgpr, 7
	.set _Z6kernelI18striped_to_blockediLj256ELj2ELj100EEvPKT0_PKjPS1_.num_named_barrier, 0
	.set _Z6kernelI18striped_to_blockediLj256ELj2ELj100EEvPKT0_PKjPS1_.private_seg_size, 0
	.set _Z6kernelI18striped_to_blockediLj256ELj2ELj100EEvPKT0_PKjPS1_.uses_vcc, 0
	.set _Z6kernelI18striped_to_blockediLj256ELj2ELj100EEvPKT0_PKjPS1_.uses_flat_scratch, 0
	.set _Z6kernelI18striped_to_blockediLj256ELj2ELj100EEvPKT0_PKjPS1_.has_dyn_sized_stack, 0
	.set _Z6kernelI18striped_to_blockediLj256ELj2ELj100EEvPKT0_PKjPS1_.has_recursion, 0
	.set _Z6kernelI18striped_to_blockediLj256ELj2ELj100EEvPKT0_PKjPS1_.has_indirect_call, 0
	.section	.AMDGPU.csdata,"",@progbits
; Kernel info:
; codeLenInByte = 272
; TotalNumSgprs: 7
; NumVgprs: 8
; ScratchSize: 0
; MemoryBound: 0
; FloatMode: 240
; IeeeMode: 1
; LDSByteSize: 2112 bytes/workgroup (compile time only)
; SGPRBlocks: 0
; VGPRBlocks: 0
; NumSGPRsForWavesPerEU: 7
; NumVGPRsForWavesPerEU: 8
; NamedBarCnt: 0
; Occupancy: 16
; WaveLimiterHint : 1
; COMPUTE_PGM_RSRC2:SCRATCH_EN: 0
; COMPUTE_PGM_RSRC2:USER_SGPR: 2
; COMPUTE_PGM_RSRC2:TRAP_HANDLER: 0
; COMPUTE_PGM_RSRC2:TGID_X_EN: 1
; COMPUTE_PGM_RSRC2:TGID_Y_EN: 0
; COMPUTE_PGM_RSRC2:TGID_Z_EN: 0
; COMPUTE_PGM_RSRC2:TIDIG_COMP_CNT: 0
	.section	.text._Z6kernelI18striped_to_blockediLj256ELj3ELj100EEvPKT0_PKjPS1_,"axG",@progbits,_Z6kernelI18striped_to_blockediLj256ELj3ELj100EEvPKT0_PKjPS1_,comdat
	.protected	_Z6kernelI18striped_to_blockediLj256ELj3ELj100EEvPKT0_PKjPS1_ ; -- Begin function _Z6kernelI18striped_to_blockediLj256ELj3ELj100EEvPKT0_PKjPS1_
	.globl	_Z6kernelI18striped_to_blockediLj256ELj3ELj100EEvPKT0_PKjPS1_
	.p2align	8
	.type	_Z6kernelI18striped_to_blockediLj256ELj3ELj100EEvPKT0_PKjPS1_,@function
_Z6kernelI18striped_to_blockediLj256ELj3ELj100EEvPKT0_PKjPS1_: ; @_Z6kernelI18striped_to_blockediLj256ELj3ELj100EEvPKT0_PKjPS1_
; %bb.0:
	s_load_b64 s[4:5], s[0:1], 0x0
	s_bfe_u32 s2, ttmp6, 0x4000c
	s_and_b32 s3, ttmp6, 15
	s_add_co_i32 s2, s2, 1
	s_getreg_b32 s6, hwreg(HW_REG_IB_STS2, 6, 4)
	s_mul_i32 s2, ttmp9, s2
	v_dual_lshlrev_b32 v1, 2, v0 :: v_dual_lshlrev_b32 v5, 3, v0
	s_add_co_i32 s3, s3, s2
	s_cmp_eq_u32 s6, 0
	s_cselect_b32 s2, ttmp9, s3
	s_mov_b32 s3, 0
	s_mulk_i32 s2, 0x300
	v_add_nc_u32_e32 v5, v1, v5
	s_lshl_b64 s[2:3], s[2:3], 2
	s_wait_kmcnt 0x0
	s_add_nc_u64 s[4:5], s[4:5], s[2:3]
	s_clause 0x2
	global_load_b32 v2, v0, s[4:5] scale_offset
	global_load_b32 v3, v0, s[4:5] offset:1024 scale_offset
	global_load_b32 v4, v0, s[4:5] offset:2048 scale_offset
	s_wait_xcnt 0x0
	s_movk_i32 s4, 0x64
.LBB32_1:                               ; =>This Inner Loop Header: Depth=1
	s_wait_loadcnt 0x1
	ds_store_2addr_stride64_b32 v1, v2, v3 offset1:4
	s_wait_loadcnt 0x0
	ds_store_b32 v1, v4 offset:2048
	s_wait_dscnt 0x0
	s_barrier_signal -1
	s_barrier_wait -1
	ds_load_2addr_b32 v[2:3], v5 offset1:1
	ds_load_b32 v4, v5 offset:8
	s_add_co_i32 s4, s4, -1
	s_wait_dscnt 0x0
	s_cmp_lg_u32 s4, 0
	s_barrier_signal -1
	s_barrier_wait -1
	s_cbranch_scc1 .LBB32_1
; %bb.2:
	s_load_b64 s[0:1], s[0:1], 0x10
	v_mul_u32_u24_e32 v0, 3, v0
	s_delay_alu instid0(VALU_DEP_1)
	v_lshlrev_b32_e32 v0, 2, v0
	s_wait_kmcnt 0x0
	s_add_nc_u64 s[0:1], s[0:1], s[2:3]
	global_store_b96 v0, v[2:4], s[0:1]
	s_endpgm
	.section	.rodata,"a",@progbits
	.p2align	6, 0x0
	.amdhsa_kernel _Z6kernelI18striped_to_blockediLj256ELj3ELj100EEvPKT0_PKjPS1_
		.amdhsa_group_segment_fixed_size 3072
		.amdhsa_private_segment_fixed_size 0
		.amdhsa_kernarg_size 24
		.amdhsa_user_sgpr_count 2
		.amdhsa_user_sgpr_dispatch_ptr 0
		.amdhsa_user_sgpr_queue_ptr 0
		.amdhsa_user_sgpr_kernarg_segment_ptr 1
		.amdhsa_user_sgpr_dispatch_id 0
		.amdhsa_user_sgpr_kernarg_preload_length 0
		.amdhsa_user_sgpr_kernarg_preload_offset 0
		.amdhsa_user_sgpr_private_segment_size 0
		.amdhsa_wavefront_size32 1
		.amdhsa_uses_dynamic_stack 0
		.amdhsa_enable_private_segment 0
		.amdhsa_system_sgpr_workgroup_id_x 1
		.amdhsa_system_sgpr_workgroup_id_y 0
		.amdhsa_system_sgpr_workgroup_id_z 0
		.amdhsa_system_sgpr_workgroup_info 0
		.amdhsa_system_vgpr_workitem_id 0
		.amdhsa_next_free_vgpr 6
		.amdhsa_next_free_sgpr 7
		.amdhsa_named_barrier_count 0
		.amdhsa_reserve_vcc 0
		.amdhsa_float_round_mode_32 0
		.amdhsa_float_round_mode_16_64 0
		.amdhsa_float_denorm_mode_32 3
		.amdhsa_float_denorm_mode_16_64 3
		.amdhsa_fp16_overflow 0
		.amdhsa_memory_ordered 1
		.amdhsa_forward_progress 1
		.amdhsa_inst_pref_size 2
		.amdhsa_round_robin_scheduling 0
		.amdhsa_exception_fp_ieee_invalid_op 0
		.amdhsa_exception_fp_denorm_src 0
		.amdhsa_exception_fp_ieee_div_zero 0
		.amdhsa_exception_fp_ieee_overflow 0
		.amdhsa_exception_fp_ieee_underflow 0
		.amdhsa_exception_fp_ieee_inexact 0
		.amdhsa_exception_int_div_zero 0
	.end_amdhsa_kernel
	.section	.text._Z6kernelI18striped_to_blockediLj256ELj3ELj100EEvPKT0_PKjPS1_,"axG",@progbits,_Z6kernelI18striped_to_blockediLj256ELj3ELj100EEvPKT0_PKjPS1_,comdat
.Lfunc_end32:
	.size	_Z6kernelI18striped_to_blockediLj256ELj3ELj100EEvPKT0_PKjPS1_, .Lfunc_end32-_Z6kernelI18striped_to_blockediLj256ELj3ELj100EEvPKT0_PKjPS1_
                                        ; -- End function
	.set _Z6kernelI18striped_to_blockediLj256ELj3ELj100EEvPKT0_PKjPS1_.num_vgpr, 6
	.set _Z6kernelI18striped_to_blockediLj256ELj3ELj100EEvPKT0_PKjPS1_.num_agpr, 0
	.set _Z6kernelI18striped_to_blockediLj256ELj3ELj100EEvPKT0_PKjPS1_.numbered_sgpr, 7
	.set _Z6kernelI18striped_to_blockediLj256ELj3ELj100EEvPKT0_PKjPS1_.num_named_barrier, 0
	.set _Z6kernelI18striped_to_blockediLj256ELj3ELj100EEvPKT0_PKjPS1_.private_seg_size, 0
	.set _Z6kernelI18striped_to_blockediLj256ELj3ELj100EEvPKT0_PKjPS1_.uses_vcc, 0
	.set _Z6kernelI18striped_to_blockediLj256ELj3ELj100EEvPKT0_PKjPS1_.uses_flat_scratch, 0
	.set _Z6kernelI18striped_to_blockediLj256ELj3ELj100EEvPKT0_PKjPS1_.has_dyn_sized_stack, 0
	.set _Z6kernelI18striped_to_blockediLj256ELj3ELj100EEvPKT0_PKjPS1_.has_recursion, 0
	.set _Z6kernelI18striped_to_blockediLj256ELj3ELj100EEvPKT0_PKjPS1_.has_indirect_call, 0
	.section	.AMDGPU.csdata,"",@progbits
; Kernel info:
; codeLenInByte = 248
; TotalNumSgprs: 7
; NumVgprs: 6
; ScratchSize: 0
; MemoryBound: 0
; FloatMode: 240
; IeeeMode: 1
; LDSByteSize: 3072 bytes/workgroup (compile time only)
; SGPRBlocks: 0
; VGPRBlocks: 0
; NumSGPRsForWavesPerEU: 7
; NumVGPRsForWavesPerEU: 6
; NamedBarCnt: 0
; Occupancy: 16
; WaveLimiterHint : 1
; COMPUTE_PGM_RSRC2:SCRATCH_EN: 0
; COMPUTE_PGM_RSRC2:USER_SGPR: 2
; COMPUTE_PGM_RSRC2:TRAP_HANDLER: 0
; COMPUTE_PGM_RSRC2:TGID_X_EN: 1
; COMPUTE_PGM_RSRC2:TGID_Y_EN: 0
; COMPUTE_PGM_RSRC2:TGID_Z_EN: 0
; COMPUTE_PGM_RSRC2:TIDIG_COMP_CNT: 0
	.section	.text._Z6kernelI18striped_to_blockediLj256ELj4ELj100EEvPKT0_PKjPS1_,"axG",@progbits,_Z6kernelI18striped_to_blockediLj256ELj4ELj100EEvPKT0_PKjPS1_,comdat
	.protected	_Z6kernelI18striped_to_blockediLj256ELj4ELj100EEvPKT0_PKjPS1_ ; -- Begin function _Z6kernelI18striped_to_blockediLj256ELj4ELj100EEvPKT0_PKjPS1_
	.globl	_Z6kernelI18striped_to_blockediLj256ELj4ELj100EEvPKT0_PKjPS1_
	.p2align	8
	.type	_Z6kernelI18striped_to_blockediLj256ELj4ELj100EEvPKT0_PKjPS1_,@function
_Z6kernelI18striped_to_blockediLj256ELj4ELj100EEvPKT0_PKjPS1_: ; @_Z6kernelI18striped_to_blockediLj256ELj4ELj100EEvPKT0_PKjPS1_
; %bb.0:
	s_load_b64 s[4:5], s[0:1], 0x0
	s_bfe_u32 s2, ttmp6, 0x4000c
	s_and_b32 s3, ttmp6, 15
	s_add_co_i32 s2, s2, 1
	s_getreg_b32 s6, hwreg(HW_REG_IB_STS2, 6, 4)
	s_mul_i32 s2, ttmp9, s2
	v_or_b32_e32 v6, 0x100, v0
	s_add_co_i32 s3, s3, s2
	s_cmp_eq_u32 s6, 0
	v_lshrrev_b32_e32 v1, 3, v0
	s_cselect_b32 s2, ttmp9, s3
	s_mov_b32 s3, 0
	s_lshl_b32 s2, s2, 10
	v_or_b32_e32 v7, 0x200, v0
	s_lshl_b64 s[2:3], s[2:3], 2
	v_or_b32_e32 v8, 0x300, v0
	v_dual_lshrrev_b32 v6, 3, v6 :: v_dual_bitop2_b32 v9, 28, v1 bitop3:0x40
	s_delay_alu instid0(VALU_DEP_3)
	v_dual_lshrrev_b32 v7, 3, v7 :: v_dual_lshrrev_b32 v10, 1, v0
	v_lshlrev_b32_e32 v1, 2, v0
	s_wait_kmcnt 0x0
	s_add_nc_u64 s[4:5], s[4:5], s[2:3]
	s_clause 0x3
	global_load_b32 v2, v0, s[4:5] scale_offset
	global_load_b32 v3, v0, s[4:5] offset:1024 scale_offset
	global_load_b32 v4, v0, s[4:5] offset:2048 scale_offset
	;; [unrolled: 1-line block ×3, first 2 shown]
	v_dual_lshrrev_b32 v8, 3, v8 :: v_dual_bitop2_b32 v11, 60, v6 bitop3:0x40
	v_and_b32_e32 v12, 0x5c, v7
	v_and_b32_e32 v10, 0x7c, v10
	v_add_nc_u32_e32 v6, v9, v1
	s_delay_alu instid0(VALU_DEP_4) | instskip(NEXT) | instid1(VALU_DEP_4)
	v_and_b32_e32 v13, 0x7c, v8
	v_dual_add_nc_u32 v7, v11, v1 :: v_dual_add_nc_u32 v8, v12, v1
	s_wait_xcnt 0x0
	v_lshl_add_u32 v0, v0, 4, v10
	s_movk_i32 s4, 0x64
	v_add_nc_u32_e32 v9, v13, v1
.LBB33_1:                               ; =>This Inner Loop Header: Depth=1
	s_wait_loadcnt 0x3
	ds_store_b32 v6, v2
	s_wait_loadcnt 0x2
	ds_store_b32 v7, v3 offset:1024
	s_wait_loadcnt 0x1
	ds_store_b32 v8, v4 offset:2048
	;; [unrolled: 2-line block ×3, first 2 shown]
	s_wait_dscnt 0x0
	s_barrier_signal -1
	s_barrier_wait -1
	ds_load_2addr_b32 v[2:3], v0 offset1:1
	ds_load_2addr_b32 v[4:5], v0 offset0:2 offset1:3
	s_add_co_i32 s4, s4, -1
	s_wait_dscnt 0x0
	s_cmp_lg_u32 s4, 0
	s_barrier_signal -1
	s_barrier_wait -1
	s_cbranch_scc1 .LBB33_1
; %bb.2:
	s_load_b64 s[0:1], s[0:1], 0x10
	v_lshlrev_b32_e32 v0, 2, v1
	s_wait_kmcnt 0x0
	s_add_nc_u64 s[0:1], s[0:1], s[2:3]
	global_store_b128 v0, v[2:5], s[0:1]
	s_endpgm
	.section	.rodata,"a",@progbits
	.p2align	6, 0x0
	.amdhsa_kernel _Z6kernelI18striped_to_blockediLj256ELj4ELj100EEvPKT0_PKjPS1_
		.amdhsa_group_segment_fixed_size 4224
		.amdhsa_private_segment_fixed_size 0
		.amdhsa_kernarg_size 24
		.amdhsa_user_sgpr_count 2
		.amdhsa_user_sgpr_dispatch_ptr 0
		.amdhsa_user_sgpr_queue_ptr 0
		.amdhsa_user_sgpr_kernarg_segment_ptr 1
		.amdhsa_user_sgpr_dispatch_id 0
		.amdhsa_user_sgpr_kernarg_preload_length 0
		.amdhsa_user_sgpr_kernarg_preload_offset 0
		.amdhsa_user_sgpr_private_segment_size 0
		.amdhsa_wavefront_size32 1
		.amdhsa_uses_dynamic_stack 0
		.amdhsa_enable_private_segment 0
		.amdhsa_system_sgpr_workgroup_id_x 1
		.amdhsa_system_sgpr_workgroup_id_y 0
		.amdhsa_system_sgpr_workgroup_id_z 0
		.amdhsa_system_sgpr_workgroup_info 0
		.amdhsa_system_vgpr_workitem_id 0
		.amdhsa_next_free_vgpr 14
		.amdhsa_next_free_sgpr 7
		.amdhsa_named_barrier_count 0
		.amdhsa_reserve_vcc 0
		.amdhsa_float_round_mode_32 0
		.amdhsa_float_round_mode_16_64 0
		.amdhsa_float_denorm_mode_32 3
		.amdhsa_float_denorm_mode_16_64 3
		.amdhsa_fp16_overflow 0
		.amdhsa_memory_ordered 1
		.amdhsa_forward_progress 1
		.amdhsa_inst_pref_size 4
		.amdhsa_round_robin_scheduling 0
		.amdhsa_exception_fp_ieee_invalid_op 0
		.amdhsa_exception_fp_denorm_src 0
		.amdhsa_exception_fp_ieee_div_zero 0
		.amdhsa_exception_fp_ieee_overflow 0
		.amdhsa_exception_fp_ieee_underflow 0
		.amdhsa_exception_fp_ieee_inexact 0
		.amdhsa_exception_int_div_zero 0
	.end_amdhsa_kernel
	.section	.text._Z6kernelI18striped_to_blockediLj256ELj4ELj100EEvPKT0_PKjPS1_,"axG",@progbits,_Z6kernelI18striped_to_blockediLj256ELj4ELj100EEvPKT0_PKjPS1_,comdat
.Lfunc_end33:
	.size	_Z6kernelI18striped_to_blockediLj256ELj4ELj100EEvPKT0_PKjPS1_, .Lfunc_end33-_Z6kernelI18striped_to_blockediLj256ELj4ELj100EEvPKT0_PKjPS1_
                                        ; -- End function
	.set _Z6kernelI18striped_to_blockediLj256ELj4ELj100EEvPKT0_PKjPS1_.num_vgpr, 14
	.set _Z6kernelI18striped_to_blockediLj256ELj4ELj100EEvPKT0_PKjPS1_.num_agpr, 0
	.set _Z6kernelI18striped_to_blockediLj256ELj4ELj100EEvPKT0_PKjPS1_.numbered_sgpr, 7
	.set _Z6kernelI18striped_to_blockediLj256ELj4ELj100EEvPKT0_PKjPS1_.num_named_barrier, 0
	.set _Z6kernelI18striped_to_blockediLj256ELj4ELj100EEvPKT0_PKjPS1_.private_seg_size, 0
	.set _Z6kernelI18striped_to_blockediLj256ELj4ELj100EEvPKT0_PKjPS1_.uses_vcc, 0
	.set _Z6kernelI18striped_to_blockediLj256ELj4ELj100EEvPKT0_PKjPS1_.uses_flat_scratch, 0
	.set _Z6kernelI18striped_to_blockediLj256ELj4ELj100EEvPKT0_PKjPS1_.has_dyn_sized_stack, 0
	.set _Z6kernelI18striped_to_blockediLj256ELj4ELj100EEvPKT0_PKjPS1_.has_recursion, 0
	.set _Z6kernelI18striped_to_blockediLj256ELj4ELj100EEvPKT0_PKjPS1_.has_indirect_call, 0
	.section	.AMDGPU.csdata,"",@progbits
; Kernel info:
; codeLenInByte = 388
; TotalNumSgprs: 7
; NumVgprs: 14
; ScratchSize: 0
; MemoryBound: 0
; FloatMode: 240
; IeeeMode: 1
; LDSByteSize: 4224 bytes/workgroup (compile time only)
; SGPRBlocks: 0
; VGPRBlocks: 0
; NumSGPRsForWavesPerEU: 7
; NumVGPRsForWavesPerEU: 14
; NamedBarCnt: 0
; Occupancy: 16
; WaveLimiterHint : 1
; COMPUTE_PGM_RSRC2:SCRATCH_EN: 0
; COMPUTE_PGM_RSRC2:USER_SGPR: 2
; COMPUTE_PGM_RSRC2:TRAP_HANDLER: 0
; COMPUTE_PGM_RSRC2:TGID_X_EN: 1
; COMPUTE_PGM_RSRC2:TGID_Y_EN: 0
; COMPUTE_PGM_RSRC2:TGID_Z_EN: 0
; COMPUTE_PGM_RSRC2:TIDIG_COMP_CNT: 0
	.section	.text._Z6kernelI18striped_to_blockediLj256ELj7ELj100EEvPKT0_PKjPS1_,"axG",@progbits,_Z6kernelI18striped_to_blockediLj256ELj7ELj100EEvPKT0_PKjPS1_,comdat
	.protected	_Z6kernelI18striped_to_blockediLj256ELj7ELj100EEvPKT0_PKjPS1_ ; -- Begin function _Z6kernelI18striped_to_blockediLj256ELj7ELj100EEvPKT0_PKjPS1_
	.globl	_Z6kernelI18striped_to_blockediLj256ELj7ELj100EEvPKT0_PKjPS1_
	.p2align	8
	.type	_Z6kernelI18striped_to_blockediLj256ELj7ELj100EEvPKT0_PKjPS1_,@function
_Z6kernelI18striped_to_blockediLj256ELj7ELj100EEvPKT0_PKjPS1_: ; @_Z6kernelI18striped_to_blockediLj256ELj7ELj100EEvPKT0_PKjPS1_
; %bb.0:
	s_load_b64 s[4:5], s[0:1], 0x0
	s_bfe_u32 s2, ttmp6, 0x4000c
	s_and_b32 s3, ttmp6, 15
	s_add_co_i32 s2, s2, 1
	s_getreg_b32 s6, hwreg(HW_REG_IB_STS2, 6, 4)
	s_mul_i32 s2, ttmp9, s2
	v_lshlrev_b32_e32 v1, 2, v0
	s_add_co_i32 s3, s3, s2
	s_cmp_eq_u32 s6, 0
	v_mul_u32_u24_e32 v9, 24, v0
	s_cselect_b32 s2, ttmp9, s3
	s_mov_b32 s3, 0
	s_mulk_i32 s2, 0x700
	s_delay_alu instid0(SALU_CYCLE_1)
	s_lshl_b64 s[2:3], s[2:3], 2
	v_add_nc_u32_e32 v9, v1, v9
	s_wait_kmcnt 0x0
	s_add_nc_u64 s[4:5], s[4:5], s[2:3]
	s_clause 0x6
	global_load_b32 v2, v0, s[4:5] scale_offset
	global_load_b32 v3, v0, s[4:5] offset:1024 scale_offset
	global_load_b32 v4, v0, s[4:5] offset:2048 scale_offset
	;; [unrolled: 1-line block ×6, first 2 shown]
	s_wait_xcnt 0x0
	s_movk_i32 s4, 0x64
.LBB34_1:                               ; =>This Inner Loop Header: Depth=1
	s_wait_loadcnt 0x5
	ds_store_2addr_stride64_b32 v1, v2, v3 offset1:4
	s_wait_loadcnt 0x3
	ds_store_2addr_stride64_b32 v1, v4, v5 offset0:8 offset1:12
	s_wait_loadcnt 0x1
	ds_store_2addr_stride64_b32 v1, v6, v7 offset0:16 offset1:20
	s_wait_loadcnt 0x0
	ds_store_b32 v1, v8 offset:6144
	s_wait_dscnt 0x0
	s_barrier_signal -1
	s_barrier_wait -1
	ds_load_2addr_b32 v[2:3], v9 offset1:1
	ds_load_2addr_b32 v[4:5], v9 offset0:2 offset1:3
	ds_load_2addr_b32 v[6:7], v9 offset0:4 offset1:5
	ds_load_b32 v8, v9 offset:24
	s_add_co_i32 s4, s4, -1
	s_wait_dscnt 0x0
	s_cmp_lg_u32 s4, 0
	s_barrier_signal -1
	s_barrier_wait -1
	s_cbranch_scc1 .LBB34_1
; %bb.2:
	s_load_b64 s[0:1], s[0:1], 0x10
	v_mul_u32_u24_e32 v0, 7, v0
	s_delay_alu instid0(VALU_DEP_1)
	v_lshlrev_b32_e32 v0, 2, v0
	s_wait_kmcnt 0x0
	s_add_nc_u64 s[0:1], s[0:1], s[2:3]
	s_clause 0x1
	global_store_b128 v0, v[2:5], s[0:1]
	global_store_b96 v0, v[6:8], s[0:1] offset:16
	s_endpgm
	.section	.rodata,"a",@progbits
	.p2align	6, 0x0
	.amdhsa_kernel _Z6kernelI18striped_to_blockediLj256ELj7ELj100EEvPKT0_PKjPS1_
		.amdhsa_group_segment_fixed_size 7168
		.amdhsa_private_segment_fixed_size 0
		.amdhsa_kernarg_size 24
		.amdhsa_user_sgpr_count 2
		.amdhsa_user_sgpr_dispatch_ptr 0
		.amdhsa_user_sgpr_queue_ptr 0
		.amdhsa_user_sgpr_kernarg_segment_ptr 1
		.amdhsa_user_sgpr_dispatch_id 0
		.amdhsa_user_sgpr_kernarg_preload_length 0
		.amdhsa_user_sgpr_kernarg_preload_offset 0
		.amdhsa_user_sgpr_private_segment_size 0
		.amdhsa_wavefront_size32 1
		.amdhsa_uses_dynamic_stack 0
		.amdhsa_enable_private_segment 0
		.amdhsa_system_sgpr_workgroup_id_x 1
		.amdhsa_system_sgpr_workgroup_id_y 0
		.amdhsa_system_sgpr_workgroup_id_z 0
		.amdhsa_system_sgpr_workgroup_info 0
		.amdhsa_system_vgpr_workitem_id 0
		.amdhsa_next_free_vgpr 10
		.amdhsa_next_free_sgpr 7
		.amdhsa_named_barrier_count 0
		.amdhsa_reserve_vcc 0
		.amdhsa_float_round_mode_32 0
		.amdhsa_float_round_mode_16_64 0
		.amdhsa_float_denorm_mode_32 3
		.amdhsa_float_denorm_mode_16_64 3
		.amdhsa_fp16_overflow 0
		.amdhsa_memory_ordered 1
		.amdhsa_forward_progress 1
		.amdhsa_inst_pref_size 3
		.amdhsa_round_robin_scheduling 0
		.amdhsa_exception_fp_ieee_invalid_op 0
		.amdhsa_exception_fp_denorm_src 0
		.amdhsa_exception_fp_ieee_div_zero 0
		.amdhsa_exception_fp_ieee_overflow 0
		.amdhsa_exception_fp_ieee_underflow 0
		.amdhsa_exception_fp_ieee_inexact 0
		.amdhsa_exception_int_div_zero 0
	.end_amdhsa_kernel
	.section	.text._Z6kernelI18striped_to_blockediLj256ELj7ELj100EEvPKT0_PKjPS1_,"axG",@progbits,_Z6kernelI18striped_to_blockediLj256ELj7ELj100EEvPKT0_PKjPS1_,comdat
.Lfunc_end34:
	.size	_Z6kernelI18striped_to_blockediLj256ELj7ELj100EEvPKT0_PKjPS1_, .Lfunc_end34-_Z6kernelI18striped_to_blockediLj256ELj7ELj100EEvPKT0_PKjPS1_
                                        ; -- End function
	.set _Z6kernelI18striped_to_blockediLj256ELj7ELj100EEvPKT0_PKjPS1_.num_vgpr, 10
	.set _Z6kernelI18striped_to_blockediLj256ELj7ELj100EEvPKT0_PKjPS1_.num_agpr, 0
	.set _Z6kernelI18striped_to_blockediLj256ELj7ELj100EEvPKT0_PKjPS1_.numbered_sgpr, 7
	.set _Z6kernelI18striped_to_blockediLj256ELj7ELj100EEvPKT0_PKjPS1_.num_named_barrier, 0
	.set _Z6kernelI18striped_to_blockediLj256ELj7ELj100EEvPKT0_PKjPS1_.private_seg_size, 0
	.set _Z6kernelI18striped_to_blockediLj256ELj7ELj100EEvPKT0_PKjPS1_.uses_vcc, 0
	.set _Z6kernelI18striped_to_blockediLj256ELj7ELj100EEvPKT0_PKjPS1_.uses_flat_scratch, 0
	.set _Z6kernelI18striped_to_blockediLj256ELj7ELj100EEvPKT0_PKjPS1_.has_dyn_sized_stack, 0
	.set _Z6kernelI18striped_to_blockediLj256ELj7ELj100EEvPKT0_PKjPS1_.has_recursion, 0
	.set _Z6kernelI18striped_to_blockediLj256ELj7ELj100EEvPKT0_PKjPS1_.has_indirect_call, 0
	.section	.AMDGPU.csdata,"",@progbits
; Kernel info:
; codeLenInByte = 352
; TotalNumSgprs: 7
; NumVgprs: 10
; ScratchSize: 0
; MemoryBound: 0
; FloatMode: 240
; IeeeMode: 1
; LDSByteSize: 7168 bytes/workgroup (compile time only)
; SGPRBlocks: 0
; VGPRBlocks: 0
; NumSGPRsForWavesPerEU: 7
; NumVGPRsForWavesPerEU: 10
; NamedBarCnt: 0
; Occupancy: 16
; WaveLimiterHint : 1
; COMPUTE_PGM_RSRC2:SCRATCH_EN: 0
; COMPUTE_PGM_RSRC2:USER_SGPR: 2
; COMPUTE_PGM_RSRC2:TRAP_HANDLER: 0
; COMPUTE_PGM_RSRC2:TGID_X_EN: 1
; COMPUTE_PGM_RSRC2:TGID_Y_EN: 0
; COMPUTE_PGM_RSRC2:TGID_Z_EN: 0
; COMPUTE_PGM_RSRC2:TIDIG_COMP_CNT: 0
	.section	.text._Z6kernelI18striped_to_blockediLj256ELj8ELj100EEvPKT0_PKjPS1_,"axG",@progbits,_Z6kernelI18striped_to_blockediLj256ELj8ELj100EEvPKT0_PKjPS1_,comdat
	.protected	_Z6kernelI18striped_to_blockediLj256ELj8ELj100EEvPKT0_PKjPS1_ ; -- Begin function _Z6kernelI18striped_to_blockediLj256ELj8ELj100EEvPKT0_PKjPS1_
	.globl	_Z6kernelI18striped_to_blockediLj256ELj8ELj100EEvPKT0_PKjPS1_
	.p2align	8
	.type	_Z6kernelI18striped_to_blockediLj256ELj8ELj100EEvPKT0_PKjPS1_,@function
_Z6kernelI18striped_to_blockediLj256ELj8ELj100EEvPKT0_PKjPS1_: ; @_Z6kernelI18striped_to_blockediLj256ELj8ELj100EEvPKT0_PKjPS1_
; %bb.0:
	s_load_b64 s[4:5], s[0:1], 0x0
	s_bfe_u32 s2, ttmp6, 0x4000c
	s_and_b32 s3, ttmp6, 15
	s_add_co_i32 s2, s2, 1
	s_getreg_b32 s6, hwreg(HW_REG_IB_STS2, 6, 4)
	s_mul_i32 s2, ttmp9, s2
	v_or_b32_e32 v1, 0x100, v0
	s_add_co_i32 s3, s3, s2
	s_cmp_eq_u32 s6, 0
	v_or_b32_e32 v10, 0x200, v0
	s_cselect_b32 s2, ttmp9, s3
	s_mov_b32 s3, 0
	s_lshl_b32 s2, s2, 11
	v_dual_lshrrev_b32 v11, 3, v0 :: v_dual_lshrrev_b32 v1, 3, v1
	s_lshl_b64 s[2:3], s[2:3], 2
	v_dual_lshrrev_b32 v10, 3, v10 :: v_dual_lshlrev_b32 v14, 2, v0
	s_delay_alu instid0(VALU_DEP_2) | instskip(NEXT) | instid1(VALU_DEP_3)
	v_and_b32_e32 v11, 28, v11
	v_and_b32_e32 v12, 60, v1
	s_wait_kmcnt 0x0
	s_add_nc_u64 s[4:5], s[4:5], s[2:3]
	v_and_b32_e32 v13, 0x5c, v10
	s_clause 0x7
	global_load_b32 v6, v0, s[4:5] scale_offset
	global_load_b32 v7, v0, s[4:5] offset:1024 scale_offset
	global_load_b32 v8, v0, s[4:5] offset:2048 scale_offset
	;; [unrolled: 1-line block ×7, first 2 shown]
	v_or_b32_e32 v15, 0x300, v0
	v_dual_add_nc_u32 v1, v11, v14 :: v_dual_add_nc_u32 v10, v12, v14
	v_or_b32_e32 v12, 0x400, v0
	s_delay_alu instid0(VALU_DEP_3)
	v_dual_add_nc_u32 v11, v13, v14 :: v_dual_lshrrev_b32 v13, 3, v15
	v_or_b32_e32 v15, 0x500, v0
	v_or_b32_e32 v16, 0x600, v0
	;; [unrolled: 1-line block ×3, first 2 shown]
	v_lshrrev_b32_e32 v12, 3, v12
	v_and_b32_e32 v13, 0x7c, v13
	s_delay_alu instid0(VALU_DEP_4) | instskip(NEXT) | instid1(VALU_DEP_4)
	v_dual_lshrrev_b32 v15, 3, v15 :: v_dual_lshrrev_b32 v16, 3, v16
	v_lshrrev_b32_e32 v17, 3, v17
	s_delay_alu instid0(VALU_DEP_4) | instskip(NEXT) | instid1(VALU_DEP_4)
	v_and_b32_e32 v18, 0x9c, v12
	v_add_nc_u32_e32 v12, v13, v14
	s_delay_alu instid0(VALU_DEP_4) | instskip(SKIP_4) | instid1(VALU_DEP_4)
	v_and_b32_e32 v15, 0xbc, v15
	v_and_b32_e32 v16, 0xdc, v16
	;; [unrolled: 1-line block ×3, first 2 shown]
	v_add_nc_u32_e32 v13, v18, v14
	v_and_b32_e32 v18, 0xfc, v0
	v_dual_add_nc_u32 v15, v15, v14 :: v_dual_add_nc_u32 v16, v16, v14
	s_delay_alu instid0(VALU_DEP_4) | instskip(SKIP_1) | instid1(VALU_DEP_3)
	v_dual_add_nc_u32 v17, v17, v14 :: v_dual_lshlrev_b32 v14, 3, v0
	s_wait_xcnt 0x0
	v_lshl_add_u32 v0, v0, 5, v18
	s_movk_i32 s4, 0x64
.LBB35_1:                               ; =>This Inner Loop Header: Depth=1
	s_wait_loadcnt 0x7
	ds_store_b32 v1, v6
	s_wait_loadcnt 0x6
	ds_store_b32 v10, v7 offset:1024
	s_wait_loadcnt 0x5
	ds_store_b32 v11, v8 offset:2048
	;; [unrolled: 2-line block ×7, first 2 shown]
	s_wait_dscnt 0x0
	s_barrier_signal -1
	s_barrier_wait -1
	ds_load_2addr_b32 v[6:7], v0 offset1:1
	ds_load_2addr_b32 v[8:9], v0 offset0:2 offset1:3
	ds_load_2addr_b32 v[2:3], v0 offset0:4 offset1:5
	;; [unrolled: 1-line block ×3, first 2 shown]
	s_add_co_i32 s4, s4, -1
	s_wait_dscnt 0x0
	s_cmp_lg_u32 s4, 0
	s_barrier_signal -1
	s_barrier_wait -1
	s_cbranch_scc1 .LBB35_1
; %bb.2:
	s_load_b64 s[0:1], s[0:1], 0x10
	v_lshlrev_b32_e32 v0, 2, v14
	s_wait_kmcnt 0x0
	s_add_nc_u64 s[0:1], s[0:1], s[2:3]
	s_clause 0x1
	global_store_b128 v0, v[6:9], s[0:1]
	global_store_b128 v0, v[2:5], s[0:1] offset:16
	s_endpgm
	.section	.rodata,"a",@progbits
	.p2align	6, 0x0
	.amdhsa_kernel _Z6kernelI18striped_to_blockediLj256ELj8ELj100EEvPKT0_PKjPS1_
		.amdhsa_group_segment_fixed_size 8448
		.amdhsa_private_segment_fixed_size 0
		.amdhsa_kernarg_size 24
		.amdhsa_user_sgpr_count 2
		.amdhsa_user_sgpr_dispatch_ptr 0
		.amdhsa_user_sgpr_queue_ptr 0
		.amdhsa_user_sgpr_kernarg_segment_ptr 1
		.amdhsa_user_sgpr_dispatch_id 0
		.amdhsa_user_sgpr_kernarg_preload_length 0
		.amdhsa_user_sgpr_kernarg_preload_offset 0
		.amdhsa_user_sgpr_private_segment_size 0
		.amdhsa_wavefront_size32 1
		.amdhsa_uses_dynamic_stack 0
		.amdhsa_enable_private_segment 0
		.amdhsa_system_sgpr_workgroup_id_x 1
		.amdhsa_system_sgpr_workgroup_id_y 0
		.amdhsa_system_sgpr_workgroup_id_z 0
		.amdhsa_system_sgpr_workgroup_info 0
		.amdhsa_system_vgpr_workitem_id 0
		.amdhsa_next_free_vgpr 19
		.amdhsa_next_free_sgpr 7
		.amdhsa_named_barrier_count 0
		.amdhsa_reserve_vcc 0
		.amdhsa_float_round_mode_32 0
		.amdhsa_float_round_mode_16_64 0
		.amdhsa_float_denorm_mode_32 3
		.amdhsa_float_denorm_mode_16_64 3
		.amdhsa_fp16_overflow 0
		.amdhsa_memory_ordered 1
		.amdhsa_forward_progress 1
		.amdhsa_inst_pref_size 5
		.amdhsa_round_robin_scheduling 0
		.amdhsa_exception_fp_ieee_invalid_op 0
		.amdhsa_exception_fp_denorm_src 0
		.amdhsa_exception_fp_ieee_div_zero 0
		.amdhsa_exception_fp_ieee_overflow 0
		.amdhsa_exception_fp_ieee_underflow 0
		.amdhsa_exception_fp_ieee_inexact 0
		.amdhsa_exception_int_div_zero 0
	.end_amdhsa_kernel
	.section	.text._Z6kernelI18striped_to_blockediLj256ELj8ELj100EEvPKT0_PKjPS1_,"axG",@progbits,_Z6kernelI18striped_to_blockediLj256ELj8ELj100EEvPKT0_PKjPS1_,comdat
.Lfunc_end35:
	.size	_Z6kernelI18striped_to_blockediLj256ELj8ELj100EEvPKT0_PKjPS1_, .Lfunc_end35-_Z6kernelI18striped_to_blockediLj256ELj8ELj100EEvPKT0_PKjPS1_
                                        ; -- End function
	.set _Z6kernelI18striped_to_blockediLj256ELj8ELj100EEvPKT0_PKjPS1_.num_vgpr, 19
	.set _Z6kernelI18striped_to_blockediLj256ELj8ELj100EEvPKT0_PKjPS1_.num_agpr, 0
	.set _Z6kernelI18striped_to_blockediLj256ELj8ELj100EEvPKT0_PKjPS1_.numbered_sgpr, 7
	.set _Z6kernelI18striped_to_blockediLj256ELj8ELj100EEvPKT0_PKjPS1_.num_named_barrier, 0
	.set _Z6kernelI18striped_to_blockediLj256ELj8ELj100EEvPKT0_PKjPS1_.private_seg_size, 0
	.set _Z6kernelI18striped_to_blockediLj256ELj8ELj100EEvPKT0_PKjPS1_.uses_vcc, 0
	.set _Z6kernelI18striped_to_blockediLj256ELj8ELj100EEvPKT0_PKjPS1_.uses_flat_scratch, 0
	.set _Z6kernelI18striped_to_blockediLj256ELj8ELj100EEvPKT0_PKjPS1_.has_dyn_sized_stack, 0
	.set _Z6kernelI18striped_to_blockediLj256ELj8ELj100EEvPKT0_PKjPS1_.has_recursion, 0
	.set _Z6kernelI18striped_to_blockediLj256ELj8ELj100EEvPKT0_PKjPS1_.has_indirect_call, 0
	.section	.AMDGPU.csdata,"",@progbits
; Kernel info:
; codeLenInByte = 640
; TotalNumSgprs: 7
; NumVgprs: 19
; ScratchSize: 0
; MemoryBound: 0
; FloatMode: 240
; IeeeMode: 1
; LDSByteSize: 8448 bytes/workgroup (compile time only)
; SGPRBlocks: 0
; VGPRBlocks: 1
; NumSGPRsForWavesPerEU: 7
; NumVGPRsForWavesPerEU: 19
; NamedBarCnt: 0
; Occupancy: 16
; WaveLimiterHint : 1
; COMPUTE_PGM_RSRC2:SCRATCH_EN: 0
; COMPUTE_PGM_RSRC2:USER_SGPR: 2
; COMPUTE_PGM_RSRC2:TRAP_HANDLER: 0
; COMPUTE_PGM_RSRC2:TGID_X_EN: 1
; COMPUTE_PGM_RSRC2:TGID_Y_EN: 0
; COMPUTE_PGM_RSRC2:TGID_Z_EN: 0
; COMPUTE_PGM_RSRC2:TIDIG_COMP_CNT: 0
	.section	.text._Z6kernelI18striped_to_blockedaLj256ELj1ELj100EEvPKT0_PKjPS1_,"axG",@progbits,_Z6kernelI18striped_to_blockedaLj256ELj1ELj100EEvPKT0_PKjPS1_,comdat
	.protected	_Z6kernelI18striped_to_blockedaLj256ELj1ELj100EEvPKT0_PKjPS1_ ; -- Begin function _Z6kernelI18striped_to_blockedaLj256ELj1ELj100EEvPKT0_PKjPS1_
	.globl	_Z6kernelI18striped_to_blockedaLj256ELj1ELj100EEvPKT0_PKjPS1_
	.p2align	8
	.type	_Z6kernelI18striped_to_blockedaLj256ELj1ELj100EEvPKT0_PKjPS1_,@function
_Z6kernelI18striped_to_blockedaLj256ELj1ELj100EEvPKT0_PKjPS1_: ; @_Z6kernelI18striped_to_blockedaLj256ELj1ELj100EEvPKT0_PKjPS1_
; %bb.0:
	s_load_b64 s[4:5], s[0:1], 0x0
	s_bfe_u32 s2, ttmp6, 0x4000c
	s_and_b32 s3, ttmp6, 15
	s_add_co_i32 s2, s2, 1
	s_getreg_b32 s6, hwreg(HW_REG_IB_STS2, 6, 4)
	s_mul_i32 s2, ttmp9, s2
	v_mov_b32_e32 v1, 0
	s_add_co_i32 s3, s3, s2
	s_cmp_eq_u32 s6, 0
	s_cselect_b32 s2, ttmp9, s3
	s_mov_b32 s3, 0
	s_lshl_b32 s2, s2, 8
	s_wait_kmcnt 0x0
	s_add_nc_u64 s[4:5], s[4:5], s[2:3]
	global_load_u8 v2, v0, s[4:5]
	s_wait_xcnt 0x0
	s_movk_i32 s4, 0x64
.LBB36_1:                               ; =>This Inner Loop Header: Depth=1
	s_wait_loadcnt 0x0
	ds_store_b8 v0, v2
	s_wait_dscnt 0x0
	s_barrier_signal -1
	s_barrier_wait -1
	ds_load_u8 v2, v0
	s_add_co_i32 s4, s4, -1
	s_wait_dscnt 0x0
	s_cmp_lg_u32 s4, 0
	s_barrier_signal -1
	s_barrier_wait -1
	s_cbranch_scc1 .LBB36_1
; %bb.2:
	s_load_b64 s[0:1], s[0:1], 0x10
	s_wait_kmcnt 0x0
	s_add_nc_u64 s[0:1], s[0:1], s[2:3]
	s_delay_alu instid0(SALU_CYCLE_1)
	v_add_nc_u64_e32 v[0:1], s[0:1], v[0:1]
	global_store_b8 v[0:1], v2, off
	s_endpgm
	.section	.rodata,"a",@progbits
	.p2align	6, 0x0
	.amdhsa_kernel _Z6kernelI18striped_to_blockedaLj256ELj1ELj100EEvPKT0_PKjPS1_
		.amdhsa_group_segment_fixed_size 256
		.amdhsa_private_segment_fixed_size 0
		.amdhsa_kernarg_size 24
		.amdhsa_user_sgpr_count 2
		.amdhsa_user_sgpr_dispatch_ptr 0
		.amdhsa_user_sgpr_queue_ptr 0
		.amdhsa_user_sgpr_kernarg_segment_ptr 1
		.amdhsa_user_sgpr_dispatch_id 0
		.amdhsa_user_sgpr_kernarg_preload_length 0
		.amdhsa_user_sgpr_kernarg_preload_offset 0
		.amdhsa_user_sgpr_private_segment_size 0
		.amdhsa_wavefront_size32 1
		.amdhsa_uses_dynamic_stack 0
		.amdhsa_enable_private_segment 0
		.amdhsa_system_sgpr_workgroup_id_x 1
		.amdhsa_system_sgpr_workgroup_id_y 0
		.amdhsa_system_sgpr_workgroup_id_z 0
		.amdhsa_system_sgpr_workgroup_info 0
		.amdhsa_system_vgpr_workitem_id 0
		.amdhsa_next_free_vgpr 3
		.amdhsa_next_free_sgpr 7
		.amdhsa_named_barrier_count 0
		.amdhsa_reserve_vcc 0
		.amdhsa_float_round_mode_32 0
		.amdhsa_float_round_mode_16_64 0
		.amdhsa_float_denorm_mode_32 3
		.amdhsa_float_denorm_mode_16_64 3
		.amdhsa_fp16_overflow 0
		.amdhsa_memory_ordered 1
		.amdhsa_forward_progress 1
		.amdhsa_inst_pref_size 2
		.amdhsa_round_robin_scheduling 0
		.amdhsa_exception_fp_ieee_invalid_op 0
		.amdhsa_exception_fp_denorm_src 0
		.amdhsa_exception_fp_ieee_div_zero 0
		.amdhsa_exception_fp_ieee_overflow 0
		.amdhsa_exception_fp_ieee_underflow 0
		.amdhsa_exception_fp_ieee_inexact 0
		.amdhsa_exception_int_div_zero 0
	.end_amdhsa_kernel
	.section	.text._Z6kernelI18striped_to_blockedaLj256ELj1ELj100EEvPKT0_PKjPS1_,"axG",@progbits,_Z6kernelI18striped_to_blockedaLj256ELj1ELj100EEvPKT0_PKjPS1_,comdat
.Lfunc_end36:
	.size	_Z6kernelI18striped_to_blockedaLj256ELj1ELj100EEvPKT0_PKjPS1_, .Lfunc_end36-_Z6kernelI18striped_to_blockedaLj256ELj1ELj100EEvPKT0_PKjPS1_
                                        ; -- End function
	.set _Z6kernelI18striped_to_blockedaLj256ELj1ELj100EEvPKT0_PKjPS1_.num_vgpr, 3
	.set _Z6kernelI18striped_to_blockedaLj256ELj1ELj100EEvPKT0_PKjPS1_.num_agpr, 0
	.set _Z6kernelI18striped_to_blockedaLj256ELj1ELj100EEvPKT0_PKjPS1_.numbered_sgpr, 7
	.set _Z6kernelI18striped_to_blockedaLj256ELj1ELj100EEvPKT0_PKjPS1_.num_named_barrier, 0
	.set _Z6kernelI18striped_to_blockedaLj256ELj1ELj100EEvPKT0_PKjPS1_.private_seg_size, 0
	.set _Z6kernelI18striped_to_blockedaLj256ELj1ELj100EEvPKT0_PKjPS1_.uses_vcc, 0
	.set _Z6kernelI18striped_to_blockedaLj256ELj1ELj100EEvPKT0_PKjPS1_.uses_flat_scratch, 0
	.set _Z6kernelI18striped_to_blockedaLj256ELj1ELj100EEvPKT0_PKjPS1_.has_dyn_sized_stack, 0
	.set _Z6kernelI18striped_to_blockedaLj256ELj1ELj100EEvPKT0_PKjPS1_.has_recursion, 0
	.set _Z6kernelI18striped_to_blockedaLj256ELj1ELj100EEvPKT0_PKjPS1_.has_indirect_call, 0
	.section	.AMDGPU.csdata,"",@progbits
; Kernel info:
; codeLenInByte = 180
; TotalNumSgprs: 7
; NumVgprs: 3
; ScratchSize: 0
; MemoryBound: 0
; FloatMode: 240
; IeeeMode: 1
; LDSByteSize: 256 bytes/workgroup (compile time only)
; SGPRBlocks: 0
; VGPRBlocks: 0
; NumSGPRsForWavesPerEU: 7
; NumVGPRsForWavesPerEU: 3
; NamedBarCnt: 0
; Occupancy: 16
; WaveLimiterHint : 0
; COMPUTE_PGM_RSRC2:SCRATCH_EN: 0
; COMPUTE_PGM_RSRC2:USER_SGPR: 2
; COMPUTE_PGM_RSRC2:TRAP_HANDLER: 0
; COMPUTE_PGM_RSRC2:TGID_X_EN: 1
; COMPUTE_PGM_RSRC2:TGID_Y_EN: 0
; COMPUTE_PGM_RSRC2:TGID_Z_EN: 0
; COMPUTE_PGM_RSRC2:TIDIG_COMP_CNT: 0
	.section	.text._Z6kernelI18striped_to_blockedaLj256ELj2ELj100EEvPKT0_PKjPS1_,"axG",@progbits,_Z6kernelI18striped_to_blockedaLj256ELj2ELj100EEvPKT0_PKjPS1_,comdat
	.protected	_Z6kernelI18striped_to_blockedaLj256ELj2ELj100EEvPKT0_PKjPS1_ ; -- Begin function _Z6kernelI18striped_to_blockedaLj256ELj2ELj100EEvPKT0_PKjPS1_
	.globl	_Z6kernelI18striped_to_blockedaLj256ELj2ELj100EEvPKT0_PKjPS1_
	.p2align	8
	.type	_Z6kernelI18striped_to_blockedaLj256ELj2ELj100EEvPKT0_PKjPS1_,@function
_Z6kernelI18striped_to_blockedaLj256ELj2ELj100EEvPKT0_PKjPS1_: ; @_Z6kernelI18striped_to_blockedaLj256ELj2ELj100EEvPKT0_PKjPS1_
; %bb.0:
	s_load_b64 s[4:5], s[0:1], 0x0
	s_bfe_u32 s2, ttmp6, 0x4000c
	s_and_b32 s3, ttmp6, 15
	s_add_co_i32 s2, s2, 1
	s_getreg_b32 s6, hwreg(HW_REG_IB_STS2, 6, 4)
	s_mul_i32 s2, ttmp9, s2
	v_or_b32_e32 v1, 0x100, v0
	s_add_co_i32 s3, s3, s2
	s_cmp_eq_u32 s6, 0
	v_lshrrev_b32_e32 v2, 5, v0
	s_cselect_b32 s2, ttmp9, s3
	s_mov_b32 s3, 0
	s_lshl_b32 s2, s2, 9
	v_dual_lshrrev_b32 v1, 5, v1 :: v_dual_lshrrev_b32 v5, 4, v0
	v_and_b32_e32 v2, 4, v2
	s_delay_alu instid0(VALU_DEP_2) | instskip(SKIP_2) | instid1(VALU_DEP_2)
	v_dual_lshlrev_b32 v1, 1, v0 :: v_dual_bitop2_b32 v6, 12, v1 bitop3:0x40
	s_wait_kmcnt 0x0
	s_add_nc_u64 s[4:5], s[4:5], s[2:3]
	v_dual_add_nc_u32 v2, v2, v0 :: v_dual_bitop2_b32 v5, 12, v5 bitop3:0x40
	s_clause 0x1
	global_load_u8 v3, v0, s[4:5] offset:256
	global_load_u8 v4, v0, s[4:5]
	s_wait_xcnt 0x0
	v_add_nc_u32_e32 v0, v6, v0
	s_movk_i32 s4, 0x64
	s_wait_loadcnt 0x0
	v_perm_b32 v4, v4, v3, 0xc0c0004
	v_add_nc_u32_e32 v3, v5, v1
.LBB37_1:                               ; =>This Inner Loop Header: Depth=1
	s_delay_alu instid0(VALU_DEP_2)
	v_lshrrev_b16 v5, 8, v4
	s_add_co_i32 s4, s4, -1
	ds_store_b8 v2, v4
	ds_store_b8 v0, v5 offset:256
	s_wait_dscnt 0x0
	s_barrier_signal -1
	s_barrier_wait -1
	ds_load_u16 v4, v3
	s_cmp_lg_u32 s4, 0
	s_wait_dscnt 0x0
	s_barrier_signal -1
	s_barrier_wait -1
	s_cbranch_scc1 .LBB37_1
; %bb.2:
	s_load_b64 s[0:1], s[0:1], 0x10
	s_wait_kmcnt 0x0
	s_add_nc_u64 s[0:1], s[0:1], s[2:3]
	global_store_b16 v1, v4, s[0:1]
	s_endpgm
	.section	.rodata,"a",@progbits
	.p2align	6, 0x0
	.amdhsa_kernel _Z6kernelI18striped_to_blockedaLj256ELj2ELj100EEvPKT0_PKjPS1_
		.amdhsa_group_segment_fixed_size 528
		.amdhsa_private_segment_fixed_size 0
		.amdhsa_kernarg_size 24
		.amdhsa_user_sgpr_count 2
		.amdhsa_user_sgpr_dispatch_ptr 0
		.amdhsa_user_sgpr_queue_ptr 0
		.amdhsa_user_sgpr_kernarg_segment_ptr 1
		.amdhsa_user_sgpr_dispatch_id 0
		.amdhsa_user_sgpr_kernarg_preload_length 0
		.amdhsa_user_sgpr_kernarg_preload_offset 0
		.amdhsa_user_sgpr_private_segment_size 0
		.amdhsa_wavefront_size32 1
		.amdhsa_uses_dynamic_stack 0
		.amdhsa_enable_private_segment 0
		.amdhsa_system_sgpr_workgroup_id_x 1
		.amdhsa_system_sgpr_workgroup_id_y 0
		.amdhsa_system_sgpr_workgroup_id_z 0
		.amdhsa_system_sgpr_workgroup_info 0
		.amdhsa_system_vgpr_workitem_id 0
		.amdhsa_next_free_vgpr 7
		.amdhsa_next_free_sgpr 7
		.amdhsa_named_barrier_count 0
		.amdhsa_reserve_vcc 0
		.amdhsa_float_round_mode_32 0
		.amdhsa_float_round_mode_16_64 0
		.amdhsa_float_denorm_mode_32 3
		.amdhsa_float_denorm_mode_16_64 3
		.amdhsa_fp16_overflow 0
		.amdhsa_memory_ordered 1
		.amdhsa_forward_progress 1
		.amdhsa_inst_pref_size 3
		.amdhsa_round_robin_scheduling 0
		.amdhsa_exception_fp_ieee_invalid_op 0
		.amdhsa_exception_fp_denorm_src 0
		.amdhsa_exception_fp_ieee_div_zero 0
		.amdhsa_exception_fp_ieee_overflow 0
		.amdhsa_exception_fp_ieee_underflow 0
		.amdhsa_exception_fp_ieee_inexact 0
		.amdhsa_exception_int_div_zero 0
	.end_amdhsa_kernel
	.section	.text._Z6kernelI18striped_to_blockedaLj256ELj2ELj100EEvPKT0_PKjPS1_,"axG",@progbits,_Z6kernelI18striped_to_blockedaLj256ELj2ELj100EEvPKT0_PKjPS1_,comdat
.Lfunc_end37:
	.size	_Z6kernelI18striped_to_blockedaLj256ELj2ELj100EEvPKT0_PKjPS1_, .Lfunc_end37-_Z6kernelI18striped_to_blockedaLj256ELj2ELj100EEvPKT0_PKjPS1_
                                        ; -- End function
	.set _Z6kernelI18striped_to_blockedaLj256ELj2ELj100EEvPKT0_PKjPS1_.num_vgpr, 7
	.set _Z6kernelI18striped_to_blockedaLj256ELj2ELj100EEvPKT0_PKjPS1_.num_agpr, 0
	.set _Z6kernelI18striped_to_blockedaLj256ELj2ELj100EEvPKT0_PKjPS1_.numbered_sgpr, 7
	.set _Z6kernelI18striped_to_blockedaLj256ELj2ELj100EEvPKT0_PKjPS1_.num_named_barrier, 0
	.set _Z6kernelI18striped_to_blockedaLj256ELj2ELj100EEvPKT0_PKjPS1_.private_seg_size, 0
	.set _Z6kernelI18striped_to_blockedaLj256ELj2ELj100EEvPKT0_PKjPS1_.uses_vcc, 0
	.set _Z6kernelI18striped_to_blockedaLj256ELj2ELj100EEvPKT0_PKjPS1_.uses_flat_scratch, 0
	.set _Z6kernelI18striped_to_blockedaLj256ELj2ELj100EEvPKT0_PKjPS1_.has_dyn_sized_stack, 0
	.set _Z6kernelI18striped_to_blockedaLj256ELj2ELj100EEvPKT0_PKjPS1_.has_recursion, 0
	.set _Z6kernelI18striped_to_blockedaLj256ELj2ELj100EEvPKT0_PKjPS1_.has_indirect_call, 0
	.section	.AMDGPU.csdata,"",@progbits
; Kernel info:
; codeLenInByte = 280
; TotalNumSgprs: 7
; NumVgprs: 7
; ScratchSize: 0
; MemoryBound: 0
; FloatMode: 240
; IeeeMode: 1
; LDSByteSize: 528 bytes/workgroup (compile time only)
; SGPRBlocks: 0
; VGPRBlocks: 0
; NumSGPRsForWavesPerEU: 7
; NumVGPRsForWavesPerEU: 7
; NamedBarCnt: 0
; Occupancy: 16
; WaveLimiterHint : 1
; COMPUTE_PGM_RSRC2:SCRATCH_EN: 0
; COMPUTE_PGM_RSRC2:USER_SGPR: 2
; COMPUTE_PGM_RSRC2:TRAP_HANDLER: 0
; COMPUTE_PGM_RSRC2:TGID_X_EN: 1
; COMPUTE_PGM_RSRC2:TGID_Y_EN: 0
; COMPUTE_PGM_RSRC2:TGID_Z_EN: 0
; COMPUTE_PGM_RSRC2:TIDIG_COMP_CNT: 0
	.section	.text._Z6kernelI18striped_to_blockedaLj256ELj3ELj100EEvPKT0_PKjPS1_,"axG",@progbits,_Z6kernelI18striped_to_blockedaLj256ELj3ELj100EEvPKT0_PKjPS1_,comdat
	.protected	_Z6kernelI18striped_to_blockedaLj256ELj3ELj100EEvPKT0_PKjPS1_ ; -- Begin function _Z6kernelI18striped_to_blockedaLj256ELj3ELj100EEvPKT0_PKjPS1_
	.globl	_Z6kernelI18striped_to_blockedaLj256ELj3ELj100EEvPKT0_PKjPS1_
	.p2align	8
	.type	_Z6kernelI18striped_to_blockedaLj256ELj3ELj100EEvPKT0_PKjPS1_,@function
_Z6kernelI18striped_to_blockedaLj256ELj3ELj100EEvPKT0_PKjPS1_: ; @_Z6kernelI18striped_to_blockedaLj256ELj3ELj100EEvPKT0_PKjPS1_
; %bb.0:
	s_load_b64 s[4:5], s[0:1], 0x0
	s_bfe_u32 s2, ttmp6, 0x4000c
	s_and_b32 s3, ttmp6, 15
	s_add_co_i32 s2, s2, 1
	s_getreg_b32 s6, hwreg(HW_REG_IB_STS2, 6, 4)
	s_mul_i32 s2, ttmp9, s2
	s_delay_alu instid0(SALU_CYCLE_1)
	s_add_co_i32 s3, s3, s2
	s_cmp_eq_u32 s6, 0
	s_cselect_b32 s2, ttmp9, s3
	s_mov_b32 s3, 0
	s_mulk_i32 s2, 0x300
	s_wait_kmcnt 0x0
	s_add_nc_u64 s[4:5], s[4:5], s[2:3]
	s_clause 0x2
	global_load_u8 v1, v0, s[4:5] offset:256
	global_load_u8 v2, v0, s[4:5] offset:512
	global_load_u8 v3, v0, s[4:5]
	s_wait_xcnt 0x0
	s_movk_i32 s4, 0x64
	s_wait_loadcnt 0x0
	v_perm_b32 v1, v3, v1, 0xc0c0004
	v_lshlrev_b32_e32 v3, 1, v0
	s_delay_alu instid0(VALU_DEP_2) | instskip(NEXT) | instid1(VALU_DEP_2)
	v_lshl_or_b32 v2, v2, 16, v1
	v_add_nc_u32_e32 v1, v0, v3
.LBB38_1:                               ; =>This Inner Loop Header: Depth=1
	s_delay_alu instid0(VALU_DEP_1)
	v_lshrrev_b32_e32 v3, 8, v2
	s_add_co_i32 s4, s4, -1
	ds_store_b8 v0, v2
	ds_store_b8 v0, v3 offset:256
	ds_store_b8_d16_hi v0, v2 offset:512
	s_wait_dscnt 0x0
	s_barrier_signal -1
	s_barrier_wait -1
	ds_load_u16 v2, v1 offset:1
	ds_load_u8 v3, v1
	s_cmp_lg_u32 s4, 0
	s_wait_dscnt 0x0
	s_barrier_signal -1
	s_barrier_wait -1
	v_lshlrev_b16 v5, 8, v2
	v_lshrrev_b16 v4, 8, v2
	s_delay_alu instid0(VALU_DEP_2) | instskip(NEXT) | instid1(VALU_DEP_2)
	v_perm_b32 v2, v3, v5, 0xc0c0104
	v_lshlrev_b32_e32 v6, 16, v4
	s_delay_alu instid0(VALU_DEP_1)
	v_or_b32_e32 v2, v2, v6
	s_cbranch_scc1 .LBB38_1
; %bb.2:
	s_load_b64 s[0:1], s[0:1], 0x10
	v_mul_u32_u24_e32 v0, 3, v0
	v_or_b32_e32 v1, v3, v5
	s_wait_kmcnt 0x0
	s_add_nc_u64 s[0:1], s[0:1], s[2:3]
	s_clause 0x1
	global_store_b8 v0, v4, s[0:1] offset:2
	global_store_b16 v0, v1, s[0:1]
	s_endpgm
	.section	.rodata,"a",@progbits
	.p2align	6, 0x0
	.amdhsa_kernel _Z6kernelI18striped_to_blockedaLj256ELj3ELj100EEvPKT0_PKjPS1_
		.amdhsa_group_segment_fixed_size 768
		.amdhsa_private_segment_fixed_size 0
		.amdhsa_kernarg_size 24
		.amdhsa_user_sgpr_count 2
		.amdhsa_user_sgpr_dispatch_ptr 0
		.amdhsa_user_sgpr_queue_ptr 0
		.amdhsa_user_sgpr_kernarg_segment_ptr 1
		.amdhsa_user_sgpr_dispatch_id 0
		.amdhsa_user_sgpr_kernarg_preload_length 0
		.amdhsa_user_sgpr_kernarg_preload_offset 0
		.amdhsa_user_sgpr_private_segment_size 0
		.amdhsa_wavefront_size32 1
		.amdhsa_uses_dynamic_stack 0
		.amdhsa_enable_private_segment 0
		.amdhsa_system_sgpr_workgroup_id_x 1
		.amdhsa_system_sgpr_workgroup_id_y 0
		.amdhsa_system_sgpr_workgroup_id_z 0
		.amdhsa_system_sgpr_workgroup_info 0
		.amdhsa_system_vgpr_workitem_id 0
		.amdhsa_next_free_vgpr 7
		.amdhsa_next_free_sgpr 7
		.amdhsa_named_barrier_count 0
		.amdhsa_reserve_vcc 0
		.amdhsa_float_round_mode_32 0
		.amdhsa_float_round_mode_16_64 0
		.amdhsa_float_denorm_mode_32 3
		.amdhsa_float_denorm_mode_16_64 3
		.amdhsa_fp16_overflow 0
		.amdhsa_memory_ordered 1
		.amdhsa_forward_progress 1
		.amdhsa_inst_pref_size 3
		.amdhsa_round_robin_scheduling 0
		.amdhsa_exception_fp_ieee_invalid_op 0
		.amdhsa_exception_fp_denorm_src 0
		.amdhsa_exception_fp_ieee_div_zero 0
		.amdhsa_exception_fp_ieee_overflow 0
		.amdhsa_exception_fp_ieee_underflow 0
		.amdhsa_exception_fp_ieee_inexact 0
		.amdhsa_exception_int_div_zero 0
	.end_amdhsa_kernel
	.section	.text._Z6kernelI18striped_to_blockedaLj256ELj3ELj100EEvPKT0_PKjPS1_,"axG",@progbits,_Z6kernelI18striped_to_blockedaLj256ELj3ELj100EEvPKT0_PKjPS1_,comdat
.Lfunc_end38:
	.size	_Z6kernelI18striped_to_blockedaLj256ELj3ELj100EEvPKT0_PKjPS1_, .Lfunc_end38-_Z6kernelI18striped_to_blockedaLj256ELj3ELj100EEvPKT0_PKjPS1_
                                        ; -- End function
	.set _Z6kernelI18striped_to_blockedaLj256ELj3ELj100EEvPKT0_PKjPS1_.num_vgpr, 7
	.set _Z6kernelI18striped_to_blockedaLj256ELj3ELj100EEvPKT0_PKjPS1_.num_agpr, 0
	.set _Z6kernelI18striped_to_blockedaLj256ELj3ELj100EEvPKT0_PKjPS1_.numbered_sgpr, 7
	.set _Z6kernelI18striped_to_blockedaLj256ELj3ELj100EEvPKT0_PKjPS1_.num_named_barrier, 0
	.set _Z6kernelI18striped_to_blockedaLj256ELj3ELj100EEvPKT0_PKjPS1_.private_seg_size, 0
	.set _Z6kernelI18striped_to_blockedaLj256ELj3ELj100EEvPKT0_PKjPS1_.uses_vcc, 0
	.set _Z6kernelI18striped_to_blockedaLj256ELj3ELj100EEvPKT0_PKjPS1_.uses_flat_scratch, 0
	.set _Z6kernelI18striped_to_blockedaLj256ELj3ELj100EEvPKT0_PKjPS1_.has_dyn_sized_stack, 0
	.set _Z6kernelI18striped_to_blockedaLj256ELj3ELj100EEvPKT0_PKjPS1_.has_recursion, 0
	.set _Z6kernelI18striped_to_blockedaLj256ELj3ELj100EEvPKT0_PKjPS1_.has_indirect_call, 0
	.section	.AMDGPU.csdata,"",@progbits
; Kernel info:
; codeLenInByte = 332
; TotalNumSgprs: 7
; NumVgprs: 7
; ScratchSize: 0
; MemoryBound: 0
; FloatMode: 240
; IeeeMode: 1
; LDSByteSize: 768 bytes/workgroup (compile time only)
; SGPRBlocks: 0
; VGPRBlocks: 0
; NumSGPRsForWavesPerEU: 7
; NumVGPRsForWavesPerEU: 7
; NamedBarCnt: 0
; Occupancy: 16
; WaveLimiterHint : 1
; COMPUTE_PGM_RSRC2:SCRATCH_EN: 0
; COMPUTE_PGM_RSRC2:USER_SGPR: 2
; COMPUTE_PGM_RSRC2:TRAP_HANDLER: 0
; COMPUTE_PGM_RSRC2:TGID_X_EN: 1
; COMPUTE_PGM_RSRC2:TGID_Y_EN: 0
; COMPUTE_PGM_RSRC2:TGID_Z_EN: 0
; COMPUTE_PGM_RSRC2:TIDIG_COMP_CNT: 0
	.section	.text._Z6kernelI18striped_to_blockedaLj256ELj4ELj100EEvPKT0_PKjPS1_,"axG",@progbits,_Z6kernelI18striped_to_blockedaLj256ELj4ELj100EEvPKT0_PKjPS1_,comdat
	.protected	_Z6kernelI18striped_to_blockedaLj256ELj4ELj100EEvPKT0_PKjPS1_ ; -- Begin function _Z6kernelI18striped_to_blockedaLj256ELj4ELj100EEvPKT0_PKjPS1_
	.globl	_Z6kernelI18striped_to_blockedaLj256ELj4ELj100EEvPKT0_PKjPS1_
	.p2align	8
	.type	_Z6kernelI18striped_to_blockedaLj256ELj4ELj100EEvPKT0_PKjPS1_,@function
_Z6kernelI18striped_to_blockedaLj256ELj4ELj100EEvPKT0_PKjPS1_: ; @_Z6kernelI18striped_to_blockedaLj256ELj4ELj100EEvPKT0_PKjPS1_
; %bb.0:
	s_load_b64 s[4:5], s[0:1], 0x0
	s_bfe_u32 s2, ttmp6, 0x4000c
	s_and_b32 s3, ttmp6, 15
	s_add_co_i32 s2, s2, 1
	s_getreg_b32 s6, hwreg(HW_REG_IB_STS2, 6, 4)
	s_mul_i32 s2, ttmp9, s2
	v_or_b32_e32 v7, 0x100, v0
	s_add_co_i32 s3, s3, s2
	s_cmp_eq_u32 s6, 0
	v_or_b32_e32 v8, 0x200, v0
	s_cselect_b32 s2, ttmp9, s3
	s_mov_b32 s3, 0
	s_lshl_b32 s2, s2, 10
	v_or_b32_e32 v9, 0x300, v0
	v_dual_lshrrev_b32 v10, 3, v0 :: v_dual_lshrrev_b32 v7, 5, v7
	v_lshrrev_b32_e32 v8, 5, v8
	v_dual_lshrrev_b32 v6, 5, v0 :: v_dual_lshlrev_b32 v1, 2, v0
	s_delay_alu instid0(VALU_DEP_4)
	v_lshrrev_b32_e32 v9, 5, v9
	s_wait_kmcnt 0x0
	s_add_nc_u64 s[4:5], s[4:5], s[2:3]
	v_and_b32_e32 v8, 20, v8
	s_clause 0x3
	global_load_u8 v2, v0, s[4:5] offset:256
	global_load_u8 v3, v0, s[4:5] offset:512
	global_load_u8 v4, v0, s[4:5]
	global_load_u8 v5, v0, s[4:5] offset:768
	v_and_b32_e32 v7, 12, v7
	v_and_b32_e32 v9, 28, v9
	s_wait_xcnt 0x0
	s_movk_i32 s4, 0x64
	s_wait_loadcnt 0x1
	v_perm_b32 v11, v4, v2, 0xc0c0004
	s_wait_loadcnt 0x0
	v_perm_b32 v5, v3, v5, 0xc0c0004
	v_dual_add_nc_u32 v4, v8, v0 :: v_dual_bitop2_b32 v6, 4, v6 bitop3:0x40
	v_dual_add_nc_u32 v3, v7, v0 :: v_dual_bitop2_b32 v10, 28, v10 bitop3:0x40
	s_delay_alu instid0(VALU_DEP_2) | instskip(NEXT) | instid1(VALU_DEP_4)
	v_dual_add_nc_u32 v2, v6, v0 :: v_dual_add_nc_u32 v0, v9, v0
	v_lshl_or_b32 v6, v5, 16, v11
	s_delay_alu instid0(VALU_DEP_3)
	v_add_nc_u32_e32 v5, v10, v1
.LBB39_1:                               ; =>This Inner Loop Header: Depth=1
	s_delay_alu instid0(VALU_DEP_2)
	v_dual_lshrrev_b32 v7, 8, v6 :: v_dual_lshrrev_b32 v8, 24, v6
	s_add_co_i32 s4, s4, -1
	ds_store_b8 v2, v6
	ds_store_b8 v3, v7 offset:256
	ds_store_b8_d16_hi v4, v6 offset:512
	ds_store_b8 v0, v8 offset:768
	s_wait_dscnt 0x0
	s_barrier_signal -1
	s_barrier_wait -1
	ds_load_b32 v6, v5
	s_cmp_lg_u32 s4, 0
	s_wait_dscnt 0x0
	s_barrier_signal -1
	s_barrier_wait -1
	s_cbranch_scc1 .LBB39_1
; %bb.2:
	s_load_b64 s[0:1], s[0:1], 0x10
	s_wait_kmcnt 0x0
	s_add_nc_u64 s[0:1], s[0:1], s[2:3]
	global_store_b32 v1, v6, s[0:1]
	s_endpgm
	.section	.rodata,"a",@progbits
	.p2align	6, 0x0
	.amdhsa_kernel _Z6kernelI18striped_to_blockedaLj256ELj4ELj100EEvPKT0_PKjPS1_
		.amdhsa_group_segment_fixed_size 1056
		.amdhsa_private_segment_fixed_size 0
		.amdhsa_kernarg_size 24
		.amdhsa_user_sgpr_count 2
		.amdhsa_user_sgpr_dispatch_ptr 0
		.amdhsa_user_sgpr_queue_ptr 0
		.amdhsa_user_sgpr_kernarg_segment_ptr 1
		.amdhsa_user_sgpr_dispatch_id 0
		.amdhsa_user_sgpr_kernarg_preload_length 0
		.amdhsa_user_sgpr_kernarg_preload_offset 0
		.amdhsa_user_sgpr_private_segment_size 0
		.amdhsa_wavefront_size32 1
		.amdhsa_uses_dynamic_stack 0
		.amdhsa_enable_private_segment 0
		.amdhsa_system_sgpr_workgroup_id_x 1
		.amdhsa_system_sgpr_workgroup_id_y 0
		.amdhsa_system_sgpr_workgroup_id_z 0
		.amdhsa_system_sgpr_workgroup_info 0
		.amdhsa_system_vgpr_workitem_id 0
		.amdhsa_next_free_vgpr 12
		.amdhsa_next_free_sgpr 7
		.amdhsa_named_barrier_count 0
		.amdhsa_reserve_vcc 0
		.amdhsa_float_round_mode_32 0
		.amdhsa_float_round_mode_16_64 0
		.amdhsa_float_denorm_mode_32 3
		.amdhsa_float_denorm_mode_16_64 3
		.amdhsa_fp16_overflow 0
		.amdhsa_memory_ordered 1
		.amdhsa_forward_progress 1
		.amdhsa_inst_pref_size 4
		.amdhsa_round_robin_scheduling 0
		.amdhsa_exception_fp_ieee_invalid_op 0
		.amdhsa_exception_fp_denorm_src 0
		.amdhsa_exception_fp_ieee_div_zero 0
		.amdhsa_exception_fp_ieee_overflow 0
		.amdhsa_exception_fp_ieee_underflow 0
		.amdhsa_exception_fp_ieee_inexact 0
		.amdhsa_exception_int_div_zero 0
	.end_amdhsa_kernel
	.section	.text._Z6kernelI18striped_to_blockedaLj256ELj4ELj100EEvPKT0_PKjPS1_,"axG",@progbits,_Z6kernelI18striped_to_blockedaLj256ELj4ELj100EEvPKT0_PKjPS1_,comdat
.Lfunc_end39:
	.size	_Z6kernelI18striped_to_blockedaLj256ELj4ELj100EEvPKT0_PKjPS1_, .Lfunc_end39-_Z6kernelI18striped_to_blockedaLj256ELj4ELj100EEvPKT0_PKjPS1_
                                        ; -- End function
	.set _Z6kernelI18striped_to_blockedaLj256ELj4ELj100EEvPKT0_PKjPS1_.num_vgpr, 12
	.set _Z6kernelI18striped_to_blockedaLj256ELj4ELj100EEvPKT0_PKjPS1_.num_agpr, 0
	.set _Z6kernelI18striped_to_blockedaLj256ELj4ELj100EEvPKT0_PKjPS1_.numbered_sgpr, 7
	.set _Z6kernelI18striped_to_blockedaLj256ELj4ELj100EEvPKT0_PKjPS1_.num_named_barrier, 0
	.set _Z6kernelI18striped_to_blockedaLj256ELj4ELj100EEvPKT0_PKjPS1_.private_seg_size, 0
	.set _Z6kernelI18striped_to_blockedaLj256ELj4ELj100EEvPKT0_PKjPS1_.uses_vcc, 0
	.set _Z6kernelI18striped_to_blockedaLj256ELj4ELj100EEvPKT0_PKjPS1_.uses_flat_scratch, 0
	.set _Z6kernelI18striped_to_blockedaLj256ELj4ELj100EEvPKT0_PKjPS1_.has_dyn_sized_stack, 0
	.set _Z6kernelI18striped_to_blockedaLj256ELj4ELj100EEvPKT0_PKjPS1_.has_recursion, 0
	.set _Z6kernelI18striped_to_blockedaLj256ELj4ELj100EEvPKT0_PKjPS1_.has_indirect_call, 0
	.section	.AMDGPU.csdata,"",@progbits
; Kernel info:
; codeLenInByte = 404
; TotalNumSgprs: 7
; NumVgprs: 12
; ScratchSize: 0
; MemoryBound: 0
; FloatMode: 240
; IeeeMode: 1
; LDSByteSize: 1056 bytes/workgroup (compile time only)
; SGPRBlocks: 0
; VGPRBlocks: 0
; NumSGPRsForWavesPerEU: 7
; NumVGPRsForWavesPerEU: 12
; NamedBarCnt: 0
; Occupancy: 16
; WaveLimiterHint : 1
; COMPUTE_PGM_RSRC2:SCRATCH_EN: 0
; COMPUTE_PGM_RSRC2:USER_SGPR: 2
; COMPUTE_PGM_RSRC2:TRAP_HANDLER: 0
; COMPUTE_PGM_RSRC2:TGID_X_EN: 1
; COMPUTE_PGM_RSRC2:TGID_Y_EN: 0
; COMPUTE_PGM_RSRC2:TGID_Z_EN: 0
; COMPUTE_PGM_RSRC2:TIDIG_COMP_CNT: 0
	.section	.text._Z6kernelI18striped_to_blockedaLj256ELj7ELj100EEvPKT0_PKjPS1_,"axG",@progbits,_Z6kernelI18striped_to_blockedaLj256ELj7ELj100EEvPKT0_PKjPS1_,comdat
	.protected	_Z6kernelI18striped_to_blockedaLj256ELj7ELj100EEvPKT0_PKjPS1_ ; -- Begin function _Z6kernelI18striped_to_blockedaLj256ELj7ELj100EEvPKT0_PKjPS1_
	.globl	_Z6kernelI18striped_to_blockedaLj256ELj7ELj100EEvPKT0_PKjPS1_
	.p2align	8
	.type	_Z6kernelI18striped_to_blockedaLj256ELj7ELj100EEvPKT0_PKjPS1_,@function
_Z6kernelI18striped_to_blockedaLj256ELj7ELj100EEvPKT0_PKjPS1_: ; @_Z6kernelI18striped_to_blockedaLj256ELj7ELj100EEvPKT0_PKjPS1_
; %bb.0:
	s_load_b64 s[4:5], s[0:1], 0x0
	s_bfe_u32 s2, ttmp6, 0x4000c
	s_and_b32 s3, ttmp6, 15
	s_add_co_i32 s2, s2, 1
	s_getreg_b32 s6, hwreg(HW_REG_IB_STS2, 6, 4)
	s_mul_i32 s2, ttmp9, s2
	s_delay_alu instid0(SALU_CYCLE_1)
	s_add_co_i32 s3, s3, s2
	s_cmp_eq_u32 s6, 0
	s_cselect_b32 s2, ttmp9, s3
	s_mov_b32 s3, 0
	s_mulk_i32 s2, 0x700
	s_wait_kmcnt 0x0
	s_add_nc_u64 s[4:5], s[4:5], s[2:3]
	s_clause 0x6
	global_load_u8 v1, v0, s[4:5] offset:1280
	global_load_u8 v4, v0, s[4:5] offset:1536
	;; [unrolled: 1-line block ×4, first 2 shown]
	global_load_u8 v6, v0, s[4:5]
	global_load_u8 v7, v0, s[4:5] offset:768
	global_load_u8 v2, v0, s[4:5] offset:1024
	s_wait_xcnt 0x0
	s_movk_i32 s4, 0x64
	s_wait_loadcnt 0x2
	v_perm_b32 v3, v6, v3, 0xc0c0004
	s_wait_loadcnt 0x1
	v_perm_b32 v5, v5, v7, 0xc0c0004
	v_mul_u32_u24_e32 v6, 6, v0
	s_delay_alu instid0(VALU_DEP_2) | instskip(NEXT) | instid1(VALU_DEP_2)
	v_lshl_or_b32 v5, v5, 16, v3
	v_add_nc_u32_e32 v3, v0, v6
.LBB40_1:                               ; =>This Inner Loop Header: Depth=1
	s_delay_alu instid0(VALU_DEP_2)
	v_dual_lshrrev_b32 v6, 8, v5 :: v_dual_lshrrev_b32 v7, 24, v5
	s_add_co_i32 s4, s4, -1
	ds_store_b8 v0, v5
	ds_store_b8 v0, v6 offset:256
	ds_store_b8_d16_hi v0, v5 offset:512
	ds_store_b8 v0, v7 offset:768
	s_wait_loadcnt 0x0
	ds_store_b8 v0, v2 offset:1024
	ds_store_b8 v0, v1 offset:1280
	;; [unrolled: 1-line block ×3, first 2 shown]
	s_wait_dscnt 0x0
	s_barrier_signal -1
	s_barrier_wait -1
	ds_load_u16 v1, v3 offset:5
	ds_load_b32 v5, v3
	ds_load_u8 v2, v3 offset:4
	s_cmp_lg_u32 s4, 0
	s_wait_dscnt 0x0
	s_barrier_signal -1
	s_barrier_wait -1
	v_lshrrev_b32_e32 v4, 8, v1
	s_cbranch_scc1 .LBB40_1
; %bb.2:
	s_load_b64 s[0:1], s[0:1], 0x10
	v_mul_u32_u24_e32 v0, 7, v0
	v_lshrrev_b16 v3, 8, v1
	v_perm_b32 v1, v2, v1, 0xc0c0004
	s_wait_kmcnt 0x0
	s_add_nc_u64 s[0:1], s[0:1], s[2:3]
	s_clause 0x2
	global_store_b8 v0, v3, s[0:1] offset:6
	global_store_b16 v0, v1, s[0:1] offset:4
	global_store_b32 v0, v5, s[0:1]
	s_endpgm
	.section	.rodata,"a",@progbits
	.p2align	6, 0x0
	.amdhsa_kernel _Z6kernelI18striped_to_blockedaLj256ELj7ELj100EEvPKT0_PKjPS1_
		.amdhsa_group_segment_fixed_size 1792
		.amdhsa_private_segment_fixed_size 0
		.amdhsa_kernarg_size 24
		.amdhsa_user_sgpr_count 2
		.amdhsa_user_sgpr_dispatch_ptr 0
		.amdhsa_user_sgpr_queue_ptr 0
		.amdhsa_user_sgpr_kernarg_segment_ptr 1
		.amdhsa_user_sgpr_dispatch_id 0
		.amdhsa_user_sgpr_kernarg_preload_length 0
		.amdhsa_user_sgpr_kernarg_preload_offset 0
		.amdhsa_user_sgpr_private_segment_size 0
		.amdhsa_wavefront_size32 1
		.amdhsa_uses_dynamic_stack 0
		.amdhsa_enable_private_segment 0
		.amdhsa_system_sgpr_workgroup_id_x 1
		.amdhsa_system_sgpr_workgroup_id_y 0
		.amdhsa_system_sgpr_workgroup_id_z 0
		.amdhsa_system_sgpr_workgroup_info 0
		.amdhsa_system_vgpr_workitem_id 0
		.amdhsa_next_free_vgpr 8
		.amdhsa_next_free_sgpr 7
		.amdhsa_named_barrier_count 0
		.amdhsa_reserve_vcc 0
		.amdhsa_float_round_mode_32 0
		.amdhsa_float_round_mode_16_64 0
		.amdhsa_float_denorm_mode_32 3
		.amdhsa_float_denorm_mode_16_64 3
		.amdhsa_fp16_overflow 0
		.amdhsa_memory_ordered 1
		.amdhsa_forward_progress 1
		.amdhsa_inst_pref_size 4
		.amdhsa_round_robin_scheduling 0
		.amdhsa_exception_fp_ieee_invalid_op 0
		.amdhsa_exception_fp_denorm_src 0
		.amdhsa_exception_fp_ieee_div_zero 0
		.amdhsa_exception_fp_ieee_overflow 0
		.amdhsa_exception_fp_ieee_underflow 0
		.amdhsa_exception_fp_ieee_inexact 0
		.amdhsa_exception_int_div_zero 0
	.end_amdhsa_kernel
	.section	.text._Z6kernelI18striped_to_blockedaLj256ELj7ELj100EEvPKT0_PKjPS1_,"axG",@progbits,_Z6kernelI18striped_to_blockedaLj256ELj7ELj100EEvPKT0_PKjPS1_,comdat
.Lfunc_end40:
	.size	_Z6kernelI18striped_to_blockedaLj256ELj7ELj100EEvPKT0_PKjPS1_, .Lfunc_end40-_Z6kernelI18striped_to_blockedaLj256ELj7ELj100EEvPKT0_PKjPS1_
                                        ; -- End function
	.set _Z6kernelI18striped_to_blockedaLj256ELj7ELj100EEvPKT0_PKjPS1_.num_vgpr, 8
	.set _Z6kernelI18striped_to_blockedaLj256ELj7ELj100EEvPKT0_PKjPS1_.num_agpr, 0
	.set _Z6kernelI18striped_to_blockedaLj256ELj7ELj100EEvPKT0_PKjPS1_.numbered_sgpr, 7
	.set _Z6kernelI18striped_to_blockedaLj256ELj7ELj100EEvPKT0_PKjPS1_.num_named_barrier, 0
	.set _Z6kernelI18striped_to_blockedaLj256ELj7ELj100EEvPKT0_PKjPS1_.private_seg_size, 0
	.set _Z6kernelI18striped_to_blockedaLj256ELj7ELj100EEvPKT0_PKjPS1_.uses_vcc, 0
	.set _Z6kernelI18striped_to_blockedaLj256ELj7ELj100EEvPKT0_PKjPS1_.uses_flat_scratch, 0
	.set _Z6kernelI18striped_to_blockedaLj256ELj7ELj100EEvPKT0_PKjPS1_.has_dyn_sized_stack, 0
	.set _Z6kernelI18striped_to_blockedaLj256ELj7ELj100EEvPKT0_PKjPS1_.has_recursion, 0
	.set _Z6kernelI18striped_to_blockedaLj256ELj7ELj100EEvPKT0_PKjPS1_.has_indirect_call, 0
	.section	.AMDGPU.csdata,"",@progbits
; Kernel info:
; codeLenInByte = 436
; TotalNumSgprs: 7
; NumVgprs: 8
; ScratchSize: 0
; MemoryBound: 0
; FloatMode: 240
; IeeeMode: 1
; LDSByteSize: 1792 bytes/workgroup (compile time only)
; SGPRBlocks: 0
; VGPRBlocks: 0
; NumSGPRsForWavesPerEU: 7
; NumVGPRsForWavesPerEU: 8
; NamedBarCnt: 0
; Occupancy: 16
; WaveLimiterHint : 1
; COMPUTE_PGM_RSRC2:SCRATCH_EN: 0
; COMPUTE_PGM_RSRC2:USER_SGPR: 2
; COMPUTE_PGM_RSRC2:TRAP_HANDLER: 0
; COMPUTE_PGM_RSRC2:TGID_X_EN: 1
; COMPUTE_PGM_RSRC2:TGID_Y_EN: 0
; COMPUTE_PGM_RSRC2:TGID_Z_EN: 0
; COMPUTE_PGM_RSRC2:TIDIG_COMP_CNT: 0
	.section	.text._Z6kernelI18striped_to_blockedaLj256ELj8ELj100EEvPKT0_PKjPS1_,"axG",@progbits,_Z6kernelI18striped_to_blockedaLj256ELj8ELj100EEvPKT0_PKjPS1_,comdat
	.protected	_Z6kernelI18striped_to_blockedaLj256ELj8ELj100EEvPKT0_PKjPS1_ ; -- Begin function _Z6kernelI18striped_to_blockedaLj256ELj8ELj100EEvPKT0_PKjPS1_
	.globl	_Z6kernelI18striped_to_blockedaLj256ELj8ELj100EEvPKT0_PKjPS1_
	.p2align	8
	.type	_Z6kernelI18striped_to_blockedaLj256ELj8ELj100EEvPKT0_PKjPS1_,@function
_Z6kernelI18striped_to_blockedaLj256ELj8ELj100EEvPKT0_PKjPS1_: ; @_Z6kernelI18striped_to_blockedaLj256ELj8ELj100EEvPKT0_PKjPS1_
; %bb.0:
	s_load_b64 s[4:5], s[0:1], 0x0
	s_bfe_u32 s2, ttmp6, 0x4000c
	s_and_b32 s3, ttmp6, 15
	s_add_co_i32 s2, s2, 1
	s_getreg_b32 s6, hwreg(HW_REG_IB_STS2, 6, 4)
	s_mul_i32 s2, ttmp9, s2
	v_or_b32_e32 v4, 0x100, v0
	s_add_co_i32 s3, s3, s2
	s_cmp_eq_u32 s6, 0
	v_or_b32_e32 v5, 0x200, v0
	s_cselect_b32 s2, ttmp9, s3
	s_mov_b32 s3, 0
	s_lshl_b32 s2, s2, 11
	v_dual_lshrrev_b32 v3, 5, v0 :: v_dual_lshlrev_b32 v2, 3, v0
	v_or_b32_e32 v6, 0x300, v0
	v_or_b32_e32 v7, 0x400, v0
	;; [unrolled: 1-line block ×5, first 2 shown]
	s_wait_kmcnt 0x0
	s_add_nc_u64 s[4:5], s[4:5], s[2:3]
	v_dual_lshrrev_b32 v18, 2, v0 :: v_dual_bitop2_b32 v3, 4, v3 bitop3:0x40
	s_clause 0x7
	global_load_u8 v1, v0, s[4:5] offset:256
	global_load_u8 v8, v0, s[4:5] offset:1536
	global_load_u8 v9, v0, s[4:5] offset:1024
	global_load_u8 v10, v0, s[4:5] offset:512
	global_load_u8 v11, v0, s[4:5]
	global_load_u8 v12, v0, s[4:5] offset:768
	global_load_u8 v13, v0, s[4:5] offset:1280
	global_load_u8 v14, v0, s[4:5] offset:1792
	v_dual_lshrrev_b32 v4, 5, v4 :: v_dual_lshrrev_b32 v5, 5, v5
	v_dual_lshrrev_b32 v6, 5, v6 :: v_dual_lshrrev_b32 v7, 5, v7
	;; [unrolled: 1-line block ×3, first 2 shown]
	v_dual_lshrrev_b32 v17, 5, v17 :: v_dual_bitop2_b32 v18, 60, v18 bitop3:0x40
	s_delay_alu instid0(VALU_DEP_4)
	v_and_b32_e32 v4, 12, v4
	v_dual_add_nc_u32 v3, v3, v0 :: v_dual_bitop2_b32 v5, 20, v5 bitop3:0x40
	v_and_b32_e32 v6, 28, v6
	v_and_b32_e32 v7, 36, v7
	;; [unrolled: 1-line block ×3, first 2 shown]
	v_dual_add_nc_u32 v4, v4, v0 :: v_dual_bitop2_b32 v15, 44, v15 bitop3:0x40
	s_delay_alu instid0(VALU_DEP_4) | instskip(NEXT) | instid1(VALU_DEP_4)
	v_dual_add_nc_u32 v6, v6, v0 :: v_dual_add_nc_u32 v5, v5, v0
	v_dual_add_nc_u32 v7, v7, v0 :: v_dual_bitop2_b32 v17, 60, v17 bitop3:0x40
	s_wait_xcnt 0x0
	s_movk_i32 s4, 0x64
	s_wait_loadcnt 0x3
	v_perm_b32 v1, v11, v1, 0xc0c0004
	s_wait_loadcnt 0x2
	v_perm_b32 v11, v10, v12, 0xc0c0004
	s_wait_loadcnt 0x1
	v_perm_b32 v12, v9, v13, 0xc0c0004
	s_wait_loadcnt 0x0
	v_perm_b32 v13, v8, v14, 0xc0c0004
	v_dual_add_nc_u32 v8, v15, v0 :: v_dual_add_nc_u32 v9, v16, v0
	v_add_nc_u32_e32 v10, v17, v0
	v_lshl_or_b32 v0, v11, 16, v1
	s_delay_alu instid0(VALU_DEP_4)
	v_lshl_or_b32 v1, v13, 16, v12
	v_add_nc_u32_e32 v11, v18, v2
.LBB41_1:                               ; =>This Inner Loop Header: Depth=1
	s_delay_alu instid0(VALU_DEP_3) | instskip(NEXT) | instid1(VALU_DEP_3)
	v_dual_lshrrev_b32 v12, 8, v0 :: v_dual_lshrrev_b32 v13, 24, v0
	v_dual_lshrrev_b32 v14, 8, v1 :: v_dual_lshrrev_b32 v15, 24, v1
	ds_store_b8 v3, v0
	ds_store_b8 v4, v12 offset:256
	ds_store_b8_d16_hi v5, v0 offset:512
	ds_store_b8 v6, v13 offset:768
	ds_store_b8 v7, v1 offset:1024
	;; [unrolled: 1-line block ×3, first 2 shown]
	ds_store_b8_d16_hi v9, v1 offset:1536
	ds_store_b8 v10, v15 offset:1792
	s_wait_dscnt 0x0
	s_barrier_signal -1
	s_barrier_wait -1
	ds_load_2addr_b32 v[0:1], v11 offset1:1
	s_add_co_i32 s4, s4, -1
	s_wait_dscnt 0x0
	s_cmp_lg_u32 s4, 0
	s_barrier_signal -1
	s_barrier_wait -1
	s_cbranch_scc1 .LBB41_1
; %bb.2:
	s_load_b64 s[0:1], s[0:1], 0x10
	s_wait_kmcnt 0x0
	s_add_nc_u64 s[0:1], s[0:1], s[2:3]
	global_store_b64 v2, v[0:1], s[0:1]
	s_endpgm
	.section	.rodata,"a",@progbits
	.p2align	6, 0x0
	.amdhsa_kernel _Z6kernelI18striped_to_blockedaLj256ELj8ELj100EEvPKT0_PKjPS1_
		.amdhsa_group_segment_fixed_size 2112
		.amdhsa_private_segment_fixed_size 0
		.amdhsa_kernarg_size 24
		.amdhsa_user_sgpr_count 2
		.amdhsa_user_sgpr_dispatch_ptr 0
		.amdhsa_user_sgpr_queue_ptr 0
		.amdhsa_user_sgpr_kernarg_segment_ptr 1
		.amdhsa_user_sgpr_dispatch_id 0
		.amdhsa_user_sgpr_kernarg_preload_length 0
		.amdhsa_user_sgpr_kernarg_preload_offset 0
		.amdhsa_user_sgpr_private_segment_size 0
		.amdhsa_wavefront_size32 1
		.amdhsa_uses_dynamic_stack 0
		.amdhsa_enable_private_segment 0
		.amdhsa_system_sgpr_workgroup_id_x 1
		.amdhsa_system_sgpr_workgroup_id_y 0
		.amdhsa_system_sgpr_workgroup_id_z 0
		.amdhsa_system_sgpr_workgroup_info 0
		.amdhsa_system_vgpr_workitem_id 0
		.amdhsa_next_free_vgpr 19
		.amdhsa_next_free_sgpr 7
		.amdhsa_named_barrier_count 0
		.amdhsa_reserve_vcc 0
		.amdhsa_float_round_mode_32 0
		.amdhsa_float_round_mode_16_64 0
		.amdhsa_float_denorm_mode_32 3
		.amdhsa_float_denorm_mode_16_64 3
		.amdhsa_fp16_overflow 0
		.amdhsa_memory_ordered 1
		.amdhsa_forward_progress 1
		.amdhsa_inst_pref_size 5
		.amdhsa_round_robin_scheduling 0
		.amdhsa_exception_fp_ieee_invalid_op 0
		.amdhsa_exception_fp_denorm_src 0
		.amdhsa_exception_fp_ieee_div_zero 0
		.amdhsa_exception_fp_ieee_overflow 0
		.amdhsa_exception_fp_ieee_underflow 0
		.amdhsa_exception_fp_ieee_inexact 0
		.amdhsa_exception_int_div_zero 0
	.end_amdhsa_kernel
	.section	.text._Z6kernelI18striped_to_blockedaLj256ELj8ELj100EEvPKT0_PKjPS1_,"axG",@progbits,_Z6kernelI18striped_to_blockedaLj256ELj8ELj100EEvPKT0_PKjPS1_,comdat
.Lfunc_end41:
	.size	_Z6kernelI18striped_to_blockedaLj256ELj8ELj100EEvPKT0_PKjPS1_, .Lfunc_end41-_Z6kernelI18striped_to_blockedaLj256ELj8ELj100EEvPKT0_PKjPS1_
                                        ; -- End function
	.set _Z6kernelI18striped_to_blockedaLj256ELj8ELj100EEvPKT0_PKjPS1_.num_vgpr, 19
	.set _Z6kernelI18striped_to_blockedaLj256ELj8ELj100EEvPKT0_PKjPS1_.num_agpr, 0
	.set _Z6kernelI18striped_to_blockedaLj256ELj8ELj100EEvPKT0_PKjPS1_.numbered_sgpr, 7
	.set _Z6kernelI18striped_to_blockedaLj256ELj8ELj100EEvPKT0_PKjPS1_.num_named_barrier, 0
	.set _Z6kernelI18striped_to_blockedaLj256ELj8ELj100EEvPKT0_PKjPS1_.private_seg_size, 0
	.set _Z6kernelI18striped_to_blockedaLj256ELj8ELj100EEvPKT0_PKjPS1_.uses_vcc, 0
	.set _Z6kernelI18striped_to_blockedaLj256ELj8ELj100EEvPKT0_PKjPS1_.uses_flat_scratch, 0
	.set _Z6kernelI18striped_to_blockedaLj256ELj8ELj100EEvPKT0_PKjPS1_.has_dyn_sized_stack, 0
	.set _Z6kernelI18striped_to_blockedaLj256ELj8ELj100EEvPKT0_PKjPS1_.has_recursion, 0
	.set _Z6kernelI18striped_to_blockedaLj256ELj8ELj100EEvPKT0_PKjPS1_.has_indirect_call, 0
	.section	.AMDGPU.csdata,"",@progbits
; Kernel info:
; codeLenInByte = 640
; TotalNumSgprs: 7
; NumVgprs: 19
; ScratchSize: 0
; MemoryBound: 0
; FloatMode: 240
; IeeeMode: 1
; LDSByteSize: 2112 bytes/workgroup (compile time only)
; SGPRBlocks: 0
; VGPRBlocks: 1
; NumSGPRsForWavesPerEU: 7
; NumVGPRsForWavesPerEU: 19
; NamedBarCnt: 0
; Occupancy: 16
; WaveLimiterHint : 1
; COMPUTE_PGM_RSRC2:SCRATCH_EN: 0
; COMPUTE_PGM_RSRC2:USER_SGPR: 2
; COMPUTE_PGM_RSRC2:TRAP_HANDLER: 0
; COMPUTE_PGM_RSRC2:TGID_X_EN: 1
; COMPUTE_PGM_RSRC2:TGID_Y_EN: 0
; COMPUTE_PGM_RSRC2:TGID_Z_EN: 0
; COMPUTE_PGM_RSRC2:TIDIG_COMP_CNT: 0
	.section	.text._Z6kernelI18striped_to_blockedxLj256ELj1ELj100EEvPKT0_PKjPS1_,"axG",@progbits,_Z6kernelI18striped_to_blockedxLj256ELj1ELj100EEvPKT0_PKjPS1_,comdat
	.protected	_Z6kernelI18striped_to_blockedxLj256ELj1ELj100EEvPKT0_PKjPS1_ ; -- Begin function _Z6kernelI18striped_to_blockedxLj256ELj1ELj100EEvPKT0_PKjPS1_
	.globl	_Z6kernelI18striped_to_blockedxLj256ELj1ELj100EEvPKT0_PKjPS1_
	.p2align	8
	.type	_Z6kernelI18striped_to_blockedxLj256ELj1ELj100EEvPKT0_PKjPS1_,@function
_Z6kernelI18striped_to_blockedxLj256ELj1ELj100EEvPKT0_PKjPS1_: ; @_Z6kernelI18striped_to_blockedxLj256ELj1ELj100EEvPKT0_PKjPS1_
; %bb.0:
	s_load_b64 s[4:5], s[0:1], 0x0
	s_bfe_u32 s2, ttmp6, 0x4000c
	s_and_b32 s3, ttmp6, 15
	s_add_co_i32 s2, s2, 1
	s_getreg_b32 s6, hwreg(HW_REG_IB_STS2, 6, 4)
	s_mul_i32 s2, ttmp9, s2
	v_lshlrev_b32_e32 v1, 3, v0
	s_add_co_i32 s3, s3, s2
	s_cmp_eq_u32 s6, 0
	s_cselect_b32 s2, ttmp9, s3
	s_mov_b32 s3, 0
	s_lshl_b32 s2, s2, 8
	s_delay_alu instid0(SALU_CYCLE_1)
	s_lshl_b64 s[2:3], s[2:3], 3
	s_wait_kmcnt 0x0
	s_add_nc_u64 s[4:5], s[4:5], s[2:3]
	global_load_b64 v[2:3], v0, s[4:5] scale_offset
	s_wait_xcnt 0x0
	s_movk_i32 s4, 0x64
.LBB42_1:                               ; =>This Inner Loop Header: Depth=1
	s_wait_loadcnt 0x0
	ds_store_b64 v1, v[2:3]
	s_wait_dscnt 0x0
	s_barrier_signal -1
	s_barrier_wait -1
	ds_load_b64 v[2:3], v1
	s_add_co_i32 s4, s4, -1
	s_wait_dscnt 0x0
	s_cmp_lg_u32 s4, 0
	s_barrier_signal -1
	s_barrier_wait -1
	s_cbranch_scc1 .LBB42_1
; %bb.2:
	s_load_b64 s[0:1], s[0:1], 0x10
	s_wait_kmcnt 0x0
	s_add_nc_u64 s[0:1], s[0:1], s[2:3]
	global_store_b64 v0, v[2:3], s[0:1] scale_offset
	s_endpgm
	.section	.rodata,"a",@progbits
	.p2align	6, 0x0
	.amdhsa_kernel _Z6kernelI18striped_to_blockedxLj256ELj1ELj100EEvPKT0_PKjPS1_
		.amdhsa_group_segment_fixed_size 2048
		.amdhsa_private_segment_fixed_size 0
		.amdhsa_kernarg_size 24
		.amdhsa_user_sgpr_count 2
		.amdhsa_user_sgpr_dispatch_ptr 0
		.amdhsa_user_sgpr_queue_ptr 0
		.amdhsa_user_sgpr_kernarg_segment_ptr 1
		.amdhsa_user_sgpr_dispatch_id 0
		.amdhsa_user_sgpr_kernarg_preload_length 0
		.amdhsa_user_sgpr_kernarg_preload_offset 0
		.amdhsa_user_sgpr_private_segment_size 0
		.amdhsa_wavefront_size32 1
		.amdhsa_uses_dynamic_stack 0
		.amdhsa_enable_private_segment 0
		.amdhsa_system_sgpr_workgroup_id_x 1
		.amdhsa_system_sgpr_workgroup_id_y 0
		.amdhsa_system_sgpr_workgroup_id_z 0
		.amdhsa_system_sgpr_workgroup_info 0
		.amdhsa_system_vgpr_workitem_id 0
		.amdhsa_next_free_vgpr 4
		.amdhsa_next_free_sgpr 7
		.amdhsa_named_barrier_count 0
		.amdhsa_reserve_vcc 0
		.amdhsa_float_round_mode_32 0
		.amdhsa_float_round_mode_16_64 0
		.amdhsa_float_denorm_mode_32 3
		.amdhsa_float_denorm_mode_16_64 3
		.amdhsa_fp16_overflow 0
		.amdhsa_memory_ordered 1
		.amdhsa_forward_progress 1
		.amdhsa_inst_pref_size 2
		.amdhsa_round_robin_scheduling 0
		.amdhsa_exception_fp_ieee_invalid_op 0
		.amdhsa_exception_fp_denorm_src 0
		.amdhsa_exception_fp_ieee_div_zero 0
		.amdhsa_exception_fp_ieee_overflow 0
		.amdhsa_exception_fp_ieee_underflow 0
		.amdhsa_exception_fp_ieee_inexact 0
		.amdhsa_exception_int_div_zero 0
	.end_amdhsa_kernel
	.section	.text._Z6kernelI18striped_to_blockedxLj256ELj1ELj100EEvPKT0_PKjPS1_,"axG",@progbits,_Z6kernelI18striped_to_blockedxLj256ELj1ELj100EEvPKT0_PKjPS1_,comdat
.Lfunc_end42:
	.size	_Z6kernelI18striped_to_blockedxLj256ELj1ELj100EEvPKT0_PKjPS1_, .Lfunc_end42-_Z6kernelI18striped_to_blockedxLj256ELj1ELj100EEvPKT0_PKjPS1_
                                        ; -- End function
	.set _Z6kernelI18striped_to_blockedxLj256ELj1ELj100EEvPKT0_PKjPS1_.num_vgpr, 4
	.set _Z6kernelI18striped_to_blockedxLj256ELj1ELj100EEvPKT0_PKjPS1_.num_agpr, 0
	.set _Z6kernelI18striped_to_blockedxLj256ELj1ELj100EEvPKT0_PKjPS1_.numbered_sgpr, 7
	.set _Z6kernelI18striped_to_blockedxLj256ELj1ELj100EEvPKT0_PKjPS1_.num_named_barrier, 0
	.set _Z6kernelI18striped_to_blockedxLj256ELj1ELj100EEvPKT0_PKjPS1_.private_seg_size, 0
	.set _Z6kernelI18striped_to_blockedxLj256ELj1ELj100EEvPKT0_PKjPS1_.uses_vcc, 0
	.set _Z6kernelI18striped_to_blockedxLj256ELj1ELj100EEvPKT0_PKjPS1_.uses_flat_scratch, 0
	.set _Z6kernelI18striped_to_blockedxLj256ELj1ELj100EEvPKT0_PKjPS1_.has_dyn_sized_stack, 0
	.set _Z6kernelI18striped_to_blockedxLj256ELj1ELj100EEvPKT0_PKjPS1_.has_recursion, 0
	.set _Z6kernelI18striped_to_blockedxLj256ELj1ELj100EEvPKT0_PKjPS1_.has_indirect_call, 0
	.section	.AMDGPU.csdata,"",@progbits
; Kernel info:
; codeLenInByte = 180
; TotalNumSgprs: 7
; NumVgprs: 4
; ScratchSize: 0
; MemoryBound: 0
; FloatMode: 240
; IeeeMode: 1
; LDSByteSize: 2048 bytes/workgroup (compile time only)
; SGPRBlocks: 0
; VGPRBlocks: 0
; NumSGPRsForWavesPerEU: 7
; NumVGPRsForWavesPerEU: 4
; NamedBarCnt: 0
; Occupancy: 16
; WaveLimiterHint : 0
; COMPUTE_PGM_RSRC2:SCRATCH_EN: 0
; COMPUTE_PGM_RSRC2:USER_SGPR: 2
; COMPUTE_PGM_RSRC2:TRAP_HANDLER: 0
; COMPUTE_PGM_RSRC2:TGID_X_EN: 1
; COMPUTE_PGM_RSRC2:TGID_Y_EN: 0
; COMPUTE_PGM_RSRC2:TGID_Z_EN: 0
; COMPUTE_PGM_RSRC2:TIDIG_COMP_CNT: 0
	.section	.text._Z6kernelI18striped_to_blockedxLj256ELj2ELj100EEvPKT0_PKjPS1_,"axG",@progbits,_Z6kernelI18striped_to_blockedxLj256ELj2ELj100EEvPKT0_PKjPS1_,comdat
	.protected	_Z6kernelI18striped_to_blockedxLj256ELj2ELj100EEvPKT0_PKjPS1_ ; -- Begin function _Z6kernelI18striped_to_blockedxLj256ELj2ELj100EEvPKT0_PKjPS1_
	.globl	_Z6kernelI18striped_to_blockedxLj256ELj2ELj100EEvPKT0_PKjPS1_
	.p2align	8
	.type	_Z6kernelI18striped_to_blockedxLj256ELj2ELj100EEvPKT0_PKjPS1_,@function
_Z6kernelI18striped_to_blockedxLj256ELj2ELj100EEvPKT0_PKjPS1_: ; @_Z6kernelI18striped_to_blockedxLj256ELj2ELj100EEvPKT0_PKjPS1_
; %bb.0:
	s_load_b64 s[4:5], s[0:1], 0x0
	s_bfe_u32 s2, ttmp6, 0x4000c
	s_and_b32 s3, ttmp6, 15
	s_add_co_i32 s2, s2, 1
	s_getreg_b32 s6, hwreg(HW_REG_IB_STS2, 6, 4)
	s_mul_i32 s2, ttmp9, s2
	v_or_b32_e32 v1, 0x100, v0
	s_add_co_i32 s3, s3, s2
	s_cmp_eq_u32 s6, 0
	v_lshrrev_b32_e32 v6, 2, v0
	s_cselect_b32 s2, ttmp9, s3
	s_mov_b32 s3, 0
	s_lshl_b32 s2, s2, 9
	v_lshrrev_b32_e32 v1, 2, v1
	s_lshl_b64 s[2:3], s[2:3], 3
	v_dual_lshrrev_b32 v7, 1, v0 :: v_dual_bitop2_b32 v6, 56, v6 bitop3:0x40
	v_lshlrev_b32_e32 v8, 3, v0
	s_delay_alu instid0(VALU_DEP_3) | instskip(NEXT) | instid1(VALU_DEP_3)
	v_and_b32_e32 v1, 0x78, v1
	v_and_b32_e32 v9, 0x78, v7
	s_wait_kmcnt 0x0
	s_add_nc_u64 s[4:5], s[4:5], s[2:3]
	s_clause 0x1
	global_load_b64 v[2:3], v0, s[4:5] scale_offset
	global_load_b64 v[4:5], v0, s[4:5] offset:2048 scale_offset
	v_add_nc_u32_e32 v7, v1, v8
	v_lshlrev_b32_e32 v1, 1, v0
	v_add_nc_u32_e32 v6, v6, v8
	s_wait_xcnt 0x0
	v_lshl_add_u32 v0, v0, 4, v9
	s_movk_i32 s4, 0x64
.LBB43_1:                               ; =>This Inner Loop Header: Depth=1
	s_wait_loadcnt 0x1
	ds_store_b64 v6, v[2:3]
	s_wait_loadcnt 0x0
	ds_store_b64 v7, v[4:5] offset:2048
	s_wait_dscnt 0x0
	s_barrier_signal -1
	s_barrier_wait -1
	ds_load_2addr_b64 v[2:5], v0 offset1:1
	s_add_co_i32 s4, s4, -1
	s_wait_dscnt 0x0
	s_cmp_lg_u32 s4, 0
	s_barrier_signal -1
	s_barrier_wait -1
	s_cbranch_scc1 .LBB43_1
; %bb.2:
	s_load_b64 s[0:1], s[0:1], 0x10
	v_lshlrev_b32_e32 v0, 3, v1
	s_wait_kmcnt 0x0
	s_add_nc_u64 s[0:1], s[0:1], s[2:3]
	global_store_b128 v0, v[2:5], s[0:1]
	s_endpgm
	.section	.rodata,"a",@progbits
	.p2align	6, 0x0
	.amdhsa_kernel _Z6kernelI18striped_to_blockedxLj256ELj2ELj100EEvPKT0_PKjPS1_
		.amdhsa_group_segment_fixed_size 4224
		.amdhsa_private_segment_fixed_size 0
		.amdhsa_kernarg_size 24
		.amdhsa_user_sgpr_count 2
		.amdhsa_user_sgpr_dispatch_ptr 0
		.amdhsa_user_sgpr_queue_ptr 0
		.amdhsa_user_sgpr_kernarg_segment_ptr 1
		.amdhsa_user_sgpr_dispatch_id 0
		.amdhsa_user_sgpr_kernarg_preload_length 0
		.amdhsa_user_sgpr_kernarg_preload_offset 0
		.amdhsa_user_sgpr_private_segment_size 0
		.amdhsa_wavefront_size32 1
		.amdhsa_uses_dynamic_stack 0
		.amdhsa_enable_private_segment 0
		.amdhsa_system_sgpr_workgroup_id_x 1
		.amdhsa_system_sgpr_workgroup_id_y 0
		.amdhsa_system_sgpr_workgroup_id_z 0
		.amdhsa_system_sgpr_workgroup_info 0
		.amdhsa_system_vgpr_workitem_id 0
		.amdhsa_next_free_vgpr 10
		.amdhsa_next_free_sgpr 7
		.amdhsa_named_barrier_count 0
		.amdhsa_reserve_vcc 0
		.amdhsa_float_round_mode_32 0
		.amdhsa_float_round_mode_16_64 0
		.amdhsa_float_denorm_mode_32 3
		.amdhsa_float_denorm_mode_16_64 3
		.amdhsa_fp16_overflow 0
		.amdhsa_memory_ordered 1
		.amdhsa_forward_progress 1
		.amdhsa_inst_pref_size 3
		.amdhsa_round_robin_scheduling 0
		.amdhsa_exception_fp_ieee_invalid_op 0
		.amdhsa_exception_fp_denorm_src 0
		.amdhsa_exception_fp_ieee_div_zero 0
		.amdhsa_exception_fp_ieee_overflow 0
		.amdhsa_exception_fp_ieee_underflow 0
		.amdhsa_exception_fp_ieee_inexact 0
		.amdhsa_exception_int_div_zero 0
	.end_amdhsa_kernel
	.section	.text._Z6kernelI18striped_to_blockedxLj256ELj2ELj100EEvPKT0_PKjPS1_,"axG",@progbits,_Z6kernelI18striped_to_blockedxLj256ELj2ELj100EEvPKT0_PKjPS1_,comdat
.Lfunc_end43:
	.size	_Z6kernelI18striped_to_blockedxLj256ELj2ELj100EEvPKT0_PKjPS1_, .Lfunc_end43-_Z6kernelI18striped_to_blockedxLj256ELj2ELj100EEvPKT0_PKjPS1_
                                        ; -- End function
	.set _Z6kernelI18striped_to_blockedxLj256ELj2ELj100EEvPKT0_PKjPS1_.num_vgpr, 10
	.set _Z6kernelI18striped_to_blockedxLj256ELj2ELj100EEvPKT0_PKjPS1_.num_agpr, 0
	.set _Z6kernelI18striped_to_blockedxLj256ELj2ELj100EEvPKT0_PKjPS1_.numbered_sgpr, 7
	.set _Z6kernelI18striped_to_blockedxLj256ELj2ELj100EEvPKT0_PKjPS1_.num_named_barrier, 0
	.set _Z6kernelI18striped_to_blockedxLj256ELj2ELj100EEvPKT0_PKjPS1_.private_seg_size, 0
	.set _Z6kernelI18striped_to_blockedxLj256ELj2ELj100EEvPKT0_PKjPS1_.uses_vcc, 0
	.set _Z6kernelI18striped_to_blockedxLj256ELj2ELj100EEvPKT0_PKjPS1_.uses_flat_scratch, 0
	.set _Z6kernelI18striped_to_blockedxLj256ELj2ELj100EEvPKT0_PKjPS1_.has_dyn_sized_stack, 0
	.set _Z6kernelI18striped_to_blockedxLj256ELj2ELj100EEvPKT0_PKjPS1_.has_recursion, 0
	.set _Z6kernelI18striped_to_blockedxLj256ELj2ELj100EEvPKT0_PKjPS1_.has_indirect_call, 0
	.section	.AMDGPU.csdata,"",@progbits
; Kernel info:
; codeLenInByte = 276
; TotalNumSgprs: 7
; NumVgprs: 10
; ScratchSize: 0
; MemoryBound: 0
; FloatMode: 240
; IeeeMode: 1
; LDSByteSize: 4224 bytes/workgroup (compile time only)
; SGPRBlocks: 0
; VGPRBlocks: 0
; NumSGPRsForWavesPerEU: 7
; NumVGPRsForWavesPerEU: 10
; NamedBarCnt: 0
; Occupancy: 16
; WaveLimiterHint : 1
; COMPUTE_PGM_RSRC2:SCRATCH_EN: 0
; COMPUTE_PGM_RSRC2:USER_SGPR: 2
; COMPUTE_PGM_RSRC2:TRAP_HANDLER: 0
; COMPUTE_PGM_RSRC2:TGID_X_EN: 1
; COMPUTE_PGM_RSRC2:TGID_Y_EN: 0
; COMPUTE_PGM_RSRC2:TGID_Z_EN: 0
; COMPUTE_PGM_RSRC2:TIDIG_COMP_CNT: 0
	.section	.text._Z6kernelI18striped_to_blockedxLj256ELj3ELj100EEvPKT0_PKjPS1_,"axG",@progbits,_Z6kernelI18striped_to_blockedxLj256ELj3ELj100EEvPKT0_PKjPS1_,comdat
	.protected	_Z6kernelI18striped_to_blockedxLj256ELj3ELj100EEvPKT0_PKjPS1_ ; -- Begin function _Z6kernelI18striped_to_blockedxLj256ELj3ELj100EEvPKT0_PKjPS1_
	.globl	_Z6kernelI18striped_to_blockedxLj256ELj3ELj100EEvPKT0_PKjPS1_
	.p2align	8
	.type	_Z6kernelI18striped_to_blockedxLj256ELj3ELj100EEvPKT0_PKjPS1_,@function
_Z6kernelI18striped_to_blockedxLj256ELj3ELj100EEvPKT0_PKjPS1_: ; @_Z6kernelI18striped_to_blockedxLj256ELj3ELj100EEvPKT0_PKjPS1_
; %bb.0:
	s_load_b64 s[4:5], s[0:1], 0x0
	s_bfe_u32 s2, ttmp6, 0x4000c
	s_and_b32 s3, ttmp6, 15
	s_add_co_i32 s2, s2, 1
	s_getreg_b32 s6, hwreg(HW_REG_IB_STS2, 6, 4)
	s_mul_i32 s2, ttmp9, s2
	v_dual_lshlrev_b32 v1, 3, v0 :: v_dual_lshlrev_b32 v8, 4, v0
	s_add_co_i32 s3, s3, s2
	s_cmp_eq_u32 s6, 0
	s_cselect_b32 s2, ttmp9, s3
	s_mov_b32 s3, 0
	s_mulk_i32 s2, 0x300
	v_add_nc_u32_e32 v8, v1, v8
	s_lshl_b64 s[2:3], s[2:3], 3
	s_wait_kmcnt 0x0
	s_add_nc_u64 s[4:5], s[4:5], s[2:3]
	s_clause 0x2
	global_load_b64 v[2:3], v0, s[4:5] scale_offset
	global_load_b64 v[4:5], v0, s[4:5] offset:2048 scale_offset
	global_load_b64 v[6:7], v0, s[4:5] offset:4096 scale_offset
	s_wait_xcnt 0x0
	s_movk_i32 s4, 0x64
.LBB44_1:                               ; =>This Inner Loop Header: Depth=1
	s_wait_loadcnt 0x1
	ds_store_2addr_stride64_b64 v1, v[2:3], v[4:5] offset1:4
	s_wait_loadcnt 0x0
	ds_store_b64 v1, v[6:7] offset:4096
	s_wait_dscnt 0x0
	s_barrier_signal -1
	s_barrier_wait -1
	ds_load_2addr_b64 v[2:5], v8 offset1:1
	ds_load_b64 v[6:7], v8 offset:16
	s_add_co_i32 s4, s4, -1
	s_wait_dscnt 0x0
	s_cmp_lg_u32 s4, 0
	s_barrier_signal -1
	s_barrier_wait -1
	s_cbranch_scc1 .LBB44_1
; %bb.2:
	s_load_b64 s[0:1], s[0:1], 0x10
	v_mul_u32_u24_e32 v0, 3, v0
	s_delay_alu instid0(VALU_DEP_1)
	v_lshlrev_b32_e32 v1, 3, v0
	s_wait_kmcnt 0x0
	s_add_nc_u64 s[0:1], s[0:1], s[2:3]
	s_clause 0x1
	global_store_b128 v1, v[2:5], s[0:1]
	global_store_b64 v0, v[6:7], s[0:1] offset:16 scale_offset
	s_endpgm
	.section	.rodata,"a",@progbits
	.p2align	6, 0x0
	.amdhsa_kernel _Z6kernelI18striped_to_blockedxLj256ELj3ELj100EEvPKT0_PKjPS1_
		.amdhsa_group_segment_fixed_size 6144
		.amdhsa_private_segment_fixed_size 0
		.amdhsa_kernarg_size 24
		.amdhsa_user_sgpr_count 2
		.amdhsa_user_sgpr_dispatch_ptr 0
		.amdhsa_user_sgpr_queue_ptr 0
		.amdhsa_user_sgpr_kernarg_segment_ptr 1
		.amdhsa_user_sgpr_dispatch_id 0
		.amdhsa_user_sgpr_kernarg_preload_length 0
		.amdhsa_user_sgpr_kernarg_preload_offset 0
		.amdhsa_user_sgpr_private_segment_size 0
		.amdhsa_wavefront_size32 1
		.amdhsa_uses_dynamic_stack 0
		.amdhsa_enable_private_segment 0
		.amdhsa_system_sgpr_workgroup_id_x 1
		.amdhsa_system_sgpr_workgroup_id_y 0
		.amdhsa_system_sgpr_workgroup_id_z 0
		.amdhsa_system_sgpr_workgroup_info 0
		.amdhsa_system_vgpr_workitem_id 0
		.amdhsa_next_free_vgpr 9
		.amdhsa_next_free_sgpr 7
		.amdhsa_named_barrier_count 0
		.amdhsa_reserve_vcc 0
		.amdhsa_float_round_mode_32 0
		.amdhsa_float_round_mode_16_64 0
		.amdhsa_float_denorm_mode_32 3
		.amdhsa_float_denorm_mode_16_64 3
		.amdhsa_fp16_overflow 0
		.amdhsa_memory_ordered 1
		.amdhsa_forward_progress 1
		.amdhsa_inst_pref_size 3
		.amdhsa_round_robin_scheduling 0
		.amdhsa_exception_fp_ieee_invalid_op 0
		.amdhsa_exception_fp_denorm_src 0
		.amdhsa_exception_fp_ieee_div_zero 0
		.amdhsa_exception_fp_ieee_overflow 0
		.amdhsa_exception_fp_ieee_underflow 0
		.amdhsa_exception_fp_ieee_inexact 0
		.amdhsa_exception_int_div_zero 0
	.end_amdhsa_kernel
	.section	.text._Z6kernelI18striped_to_blockedxLj256ELj3ELj100EEvPKT0_PKjPS1_,"axG",@progbits,_Z6kernelI18striped_to_blockedxLj256ELj3ELj100EEvPKT0_PKjPS1_,comdat
.Lfunc_end44:
	.size	_Z6kernelI18striped_to_blockedxLj256ELj3ELj100EEvPKT0_PKjPS1_, .Lfunc_end44-_Z6kernelI18striped_to_blockedxLj256ELj3ELj100EEvPKT0_PKjPS1_
                                        ; -- End function
	.set _Z6kernelI18striped_to_blockedxLj256ELj3ELj100EEvPKT0_PKjPS1_.num_vgpr, 9
	.set _Z6kernelI18striped_to_blockedxLj256ELj3ELj100EEvPKT0_PKjPS1_.num_agpr, 0
	.set _Z6kernelI18striped_to_blockedxLj256ELj3ELj100EEvPKT0_PKjPS1_.numbered_sgpr, 7
	.set _Z6kernelI18striped_to_blockedxLj256ELj3ELj100EEvPKT0_PKjPS1_.num_named_barrier, 0
	.set _Z6kernelI18striped_to_blockedxLj256ELj3ELj100EEvPKT0_PKjPS1_.private_seg_size, 0
	.set _Z6kernelI18striped_to_blockedxLj256ELj3ELj100EEvPKT0_PKjPS1_.uses_vcc, 0
	.set _Z6kernelI18striped_to_blockedxLj256ELj3ELj100EEvPKT0_PKjPS1_.uses_flat_scratch, 0
	.set _Z6kernelI18striped_to_blockedxLj256ELj3ELj100EEvPKT0_PKjPS1_.has_dyn_sized_stack, 0
	.set _Z6kernelI18striped_to_blockedxLj256ELj3ELj100EEvPKT0_PKjPS1_.has_recursion, 0
	.set _Z6kernelI18striped_to_blockedxLj256ELj3ELj100EEvPKT0_PKjPS1_.has_indirect_call, 0
	.section	.AMDGPU.csdata,"",@progbits
; Kernel info:
; codeLenInByte = 264
; TotalNumSgprs: 7
; NumVgprs: 9
; ScratchSize: 0
; MemoryBound: 0
; FloatMode: 240
; IeeeMode: 1
; LDSByteSize: 6144 bytes/workgroup (compile time only)
; SGPRBlocks: 0
; VGPRBlocks: 0
; NumSGPRsForWavesPerEU: 7
; NumVGPRsForWavesPerEU: 9
; NamedBarCnt: 0
; Occupancy: 16
; WaveLimiterHint : 1
; COMPUTE_PGM_RSRC2:SCRATCH_EN: 0
; COMPUTE_PGM_RSRC2:USER_SGPR: 2
; COMPUTE_PGM_RSRC2:TRAP_HANDLER: 0
; COMPUTE_PGM_RSRC2:TGID_X_EN: 1
; COMPUTE_PGM_RSRC2:TGID_Y_EN: 0
; COMPUTE_PGM_RSRC2:TGID_Z_EN: 0
; COMPUTE_PGM_RSRC2:TIDIG_COMP_CNT: 0
	.section	.text._Z6kernelI18striped_to_blockedxLj256ELj4ELj100EEvPKT0_PKjPS1_,"axG",@progbits,_Z6kernelI18striped_to_blockedxLj256ELj4ELj100EEvPKT0_PKjPS1_,comdat
	.protected	_Z6kernelI18striped_to_blockedxLj256ELj4ELj100EEvPKT0_PKjPS1_ ; -- Begin function _Z6kernelI18striped_to_blockedxLj256ELj4ELj100EEvPKT0_PKjPS1_
	.globl	_Z6kernelI18striped_to_blockedxLj256ELj4ELj100EEvPKT0_PKjPS1_
	.p2align	8
	.type	_Z6kernelI18striped_to_blockedxLj256ELj4ELj100EEvPKT0_PKjPS1_,@function
_Z6kernelI18striped_to_blockedxLj256ELj4ELj100EEvPKT0_PKjPS1_: ; @_Z6kernelI18striped_to_blockedxLj256ELj4ELj100EEvPKT0_PKjPS1_
; %bb.0:
	s_load_b64 s[4:5], s[0:1], 0x0
	s_bfe_u32 s2, ttmp6, 0x4000c
	s_and_b32 s3, ttmp6, 15
	s_add_co_i32 s2, s2, 1
	s_getreg_b32 s6, hwreg(HW_REG_IB_STS2, 6, 4)
	s_mul_i32 s2, ttmp9, s2
	v_or_b32_e32 v10, 0x100, v0
	s_add_co_i32 s3, s3, s2
	s_cmp_eq_u32 s6, 0
	v_lshrrev_b32_e32 v1, 2, v0
	s_cselect_b32 s2, ttmp9, s3
	s_mov_b32 s3, 0
	s_lshl_b32 s2, s2, 10
	v_or_b32_e32 v11, 0x200, v0
	s_lshl_b64 s[2:3], s[2:3], 3
	v_lshrrev_b32_e32 v10, 2, v10
	v_or_b32_e32 v12, 0x300, v0
	s_delay_alu instid0(VALU_DEP_3)
	v_dual_lshrrev_b32 v11, 2, v11 :: v_dual_bitop2_b32 v1, 56, v1 bitop3:0x40
	v_lshlrev_b32_e32 v13, 3, v0
	s_wait_kmcnt 0x0
	s_add_nc_u64 s[4:5], s[4:5], s[2:3]
	v_and_b32_e32 v10, 0x78, v10
	s_clause 0x3
	global_load_b64 v[2:3], v0, s[4:5] scale_offset
	global_load_b64 v[4:5], v0, s[4:5] offset:2048 scale_offset
	global_load_b64 v[6:7], v0, s[4:5] offset:4096 scale_offset
	;; [unrolled: 1-line block ×3, first 2 shown]
	v_and_b32_e32 v14, 0xb8, v11
	v_and_b32_e32 v16, 0xf8, v0
	s_wait_xcnt 0x0
	s_movk_i32 s4, 0x64
	v_dual_add_nc_u32 v11, v10, v13 :: v_dual_lshlrev_b32 v10, 2, v0
	v_dual_lshrrev_b32 v12, 2, v12 :: v_dual_add_nc_u32 v1, v1, v13
	v_lshl_add_u32 v0, v0, 5, v16
	s_delay_alu instid0(VALU_DEP_2) | instskip(NEXT) | instid1(VALU_DEP_1)
	v_and_b32_e32 v15, 0xf8, v12
	v_dual_add_nc_u32 v12, v14, v13 :: v_dual_add_nc_u32 v13, v15, v13
.LBB45_1:                               ; =>This Inner Loop Header: Depth=1
	s_wait_loadcnt 0x3
	ds_store_b64 v1, v[2:3]
	s_wait_loadcnt 0x2
	ds_store_b64 v11, v[4:5] offset:2048
	s_wait_loadcnt 0x1
	ds_store_b64 v12, v[6:7] offset:4096
	;; [unrolled: 2-line block ×3, first 2 shown]
	s_wait_dscnt 0x0
	s_barrier_signal -1
	s_barrier_wait -1
	ds_load_2addr_b64 v[2:5], v0 offset1:1
	ds_load_2addr_b64 v[6:9], v0 offset0:2 offset1:3
	s_add_co_i32 s4, s4, -1
	s_wait_dscnt 0x0
	s_cmp_lg_u32 s4, 0
	s_barrier_signal -1
	s_barrier_wait -1
	s_cbranch_scc1 .LBB45_1
; %bb.2:
	s_load_b64 s[0:1], s[0:1], 0x10
	v_lshlrev_b32_e32 v0, 3, v10
	s_wait_kmcnt 0x0
	s_add_nc_u64 s[0:1], s[0:1], s[2:3]
	s_clause 0x1
	global_store_b128 v0, v[2:5], s[0:1]
	global_store_b128 v0, v[6:9], s[0:1] offset:16
	s_endpgm
	.section	.rodata,"a",@progbits
	.p2align	6, 0x0
	.amdhsa_kernel _Z6kernelI18striped_to_blockedxLj256ELj4ELj100EEvPKT0_PKjPS1_
		.amdhsa_group_segment_fixed_size 8448
		.amdhsa_private_segment_fixed_size 0
		.amdhsa_kernarg_size 24
		.amdhsa_user_sgpr_count 2
		.amdhsa_user_sgpr_dispatch_ptr 0
		.amdhsa_user_sgpr_queue_ptr 0
		.amdhsa_user_sgpr_kernarg_segment_ptr 1
		.amdhsa_user_sgpr_dispatch_id 0
		.amdhsa_user_sgpr_kernarg_preload_length 0
		.amdhsa_user_sgpr_kernarg_preload_offset 0
		.amdhsa_user_sgpr_private_segment_size 0
		.amdhsa_wavefront_size32 1
		.amdhsa_uses_dynamic_stack 0
		.amdhsa_enable_private_segment 0
		.amdhsa_system_sgpr_workgroup_id_x 1
		.amdhsa_system_sgpr_workgroup_id_y 0
		.amdhsa_system_sgpr_workgroup_id_z 0
		.amdhsa_system_sgpr_workgroup_info 0
		.amdhsa_system_vgpr_workitem_id 0
		.amdhsa_next_free_vgpr 17
		.amdhsa_next_free_sgpr 7
		.amdhsa_named_barrier_count 0
		.amdhsa_reserve_vcc 0
		.amdhsa_float_round_mode_32 0
		.amdhsa_float_round_mode_16_64 0
		.amdhsa_float_denorm_mode_32 3
		.amdhsa_float_denorm_mode_16_64 3
		.amdhsa_fp16_overflow 0
		.amdhsa_memory_ordered 1
		.amdhsa_forward_progress 1
		.amdhsa_inst_pref_size 4
		.amdhsa_round_robin_scheduling 0
		.amdhsa_exception_fp_ieee_invalid_op 0
		.amdhsa_exception_fp_denorm_src 0
		.amdhsa_exception_fp_ieee_div_zero 0
		.amdhsa_exception_fp_ieee_overflow 0
		.amdhsa_exception_fp_ieee_underflow 0
		.amdhsa_exception_fp_ieee_inexact 0
		.amdhsa_exception_int_div_zero 0
	.end_amdhsa_kernel
	.section	.text._Z6kernelI18striped_to_blockedxLj256ELj4ELj100EEvPKT0_PKjPS1_,"axG",@progbits,_Z6kernelI18striped_to_blockedxLj256ELj4ELj100EEvPKT0_PKjPS1_,comdat
.Lfunc_end45:
	.size	_Z6kernelI18striped_to_blockedxLj256ELj4ELj100EEvPKT0_PKjPS1_, .Lfunc_end45-_Z6kernelI18striped_to_blockedxLj256ELj4ELj100EEvPKT0_PKjPS1_
                                        ; -- End function
	.set _Z6kernelI18striped_to_blockedxLj256ELj4ELj100EEvPKT0_PKjPS1_.num_vgpr, 17
	.set _Z6kernelI18striped_to_blockedxLj256ELj4ELj100EEvPKT0_PKjPS1_.num_agpr, 0
	.set _Z6kernelI18striped_to_blockedxLj256ELj4ELj100EEvPKT0_PKjPS1_.numbered_sgpr, 7
	.set _Z6kernelI18striped_to_blockedxLj256ELj4ELj100EEvPKT0_PKjPS1_.num_named_barrier, 0
	.set _Z6kernelI18striped_to_blockedxLj256ELj4ELj100EEvPKT0_PKjPS1_.private_seg_size, 0
	.set _Z6kernelI18striped_to_blockedxLj256ELj4ELj100EEvPKT0_PKjPS1_.uses_vcc, 0
	.set _Z6kernelI18striped_to_blockedxLj256ELj4ELj100EEvPKT0_PKjPS1_.uses_flat_scratch, 0
	.set _Z6kernelI18striped_to_blockedxLj256ELj4ELj100EEvPKT0_PKjPS1_.has_dyn_sized_stack, 0
	.set _Z6kernelI18striped_to_blockedxLj256ELj4ELj100EEvPKT0_PKjPS1_.has_recursion, 0
	.set _Z6kernelI18striped_to_blockedxLj256ELj4ELj100EEvPKT0_PKjPS1_.has_indirect_call, 0
	.section	.AMDGPU.csdata,"",@progbits
; Kernel info:
; codeLenInByte = 408
; TotalNumSgprs: 7
; NumVgprs: 17
; ScratchSize: 0
; MemoryBound: 0
; FloatMode: 240
; IeeeMode: 1
; LDSByteSize: 8448 bytes/workgroup (compile time only)
; SGPRBlocks: 0
; VGPRBlocks: 1
; NumSGPRsForWavesPerEU: 7
; NumVGPRsForWavesPerEU: 17
; NamedBarCnt: 0
; Occupancy: 16
; WaveLimiterHint : 1
; COMPUTE_PGM_RSRC2:SCRATCH_EN: 0
; COMPUTE_PGM_RSRC2:USER_SGPR: 2
; COMPUTE_PGM_RSRC2:TRAP_HANDLER: 0
; COMPUTE_PGM_RSRC2:TGID_X_EN: 1
; COMPUTE_PGM_RSRC2:TGID_Y_EN: 0
; COMPUTE_PGM_RSRC2:TGID_Z_EN: 0
; COMPUTE_PGM_RSRC2:TIDIG_COMP_CNT: 0
	.section	.text._Z6kernelI18striped_to_blockedxLj256ELj7ELj100EEvPKT0_PKjPS1_,"axG",@progbits,_Z6kernelI18striped_to_blockedxLj256ELj7ELj100EEvPKT0_PKjPS1_,comdat
	.protected	_Z6kernelI18striped_to_blockedxLj256ELj7ELj100EEvPKT0_PKjPS1_ ; -- Begin function _Z6kernelI18striped_to_blockedxLj256ELj7ELj100EEvPKT0_PKjPS1_
	.globl	_Z6kernelI18striped_to_blockedxLj256ELj7ELj100EEvPKT0_PKjPS1_
	.p2align	8
	.type	_Z6kernelI18striped_to_blockedxLj256ELj7ELj100EEvPKT0_PKjPS1_,@function
_Z6kernelI18striped_to_blockedxLj256ELj7ELj100EEvPKT0_PKjPS1_: ; @_Z6kernelI18striped_to_blockedxLj256ELj7ELj100EEvPKT0_PKjPS1_
; %bb.0:
	s_load_b64 s[4:5], s[0:1], 0x0
	s_bfe_u32 s2, ttmp6, 0x4000c
	s_and_b32 s3, ttmp6, 15
	s_add_co_i32 s2, s2, 1
	s_getreg_b32 s6, hwreg(HW_REG_IB_STS2, 6, 4)
	s_mul_i32 s2, ttmp9, s2
	v_lshlrev_b32_e32 v1, 3, v0
	s_add_co_i32 s3, s3, s2
	s_cmp_eq_u32 s6, 0
	v_mul_u32_u24_e32 v16, 48, v0
	s_cselect_b32 s2, ttmp9, s3
	s_mov_b32 s3, 0
	s_mulk_i32 s2, 0x700
	s_delay_alu instid0(SALU_CYCLE_1)
	s_lshl_b64 s[2:3], s[2:3], 3
	v_add_nc_u32_e32 v16, v1, v16
	s_wait_kmcnt 0x0
	s_add_nc_u64 s[4:5], s[4:5], s[2:3]
	s_clause 0x6
	global_load_b64 v[2:3], v0, s[4:5] scale_offset
	global_load_b64 v[4:5], v0, s[4:5] offset:2048 scale_offset
	global_load_b64 v[6:7], v0, s[4:5] offset:4096 scale_offset
	;; [unrolled: 1-line block ×6, first 2 shown]
	s_wait_xcnt 0x0
	s_movk_i32 s4, 0x64
.LBB46_1:                               ; =>This Inner Loop Header: Depth=1
	s_wait_loadcnt 0x5
	ds_store_2addr_stride64_b64 v1, v[2:3], v[4:5] offset1:4
	s_wait_loadcnt 0x3
	ds_store_2addr_stride64_b64 v1, v[6:7], v[8:9] offset0:8 offset1:12
	s_wait_loadcnt 0x1
	ds_store_2addr_stride64_b64 v1, v[10:11], v[12:13] offset0:16 offset1:20
	s_wait_loadcnt 0x0
	ds_store_b64 v1, v[14:15] offset:12288
	s_wait_dscnt 0x0
	s_barrier_signal -1
	s_barrier_wait -1
	ds_load_2addr_b64 v[2:5], v16 offset1:1
	ds_load_2addr_b64 v[6:9], v16 offset0:2 offset1:3
	ds_load_2addr_b64 v[10:13], v16 offset0:4 offset1:5
	ds_load_b64 v[14:15], v16 offset:48
	s_add_co_i32 s4, s4, -1
	s_wait_dscnt 0x0
	s_cmp_lg_u32 s4, 0
	s_barrier_signal -1
	s_barrier_wait -1
	s_cbranch_scc1 .LBB46_1
; %bb.2:
	s_load_b64 s[0:1], s[0:1], 0x10
	v_mul_u32_u24_e32 v0, 7, v0
	s_delay_alu instid0(VALU_DEP_1)
	v_lshlrev_b32_e32 v1, 3, v0
	s_wait_kmcnt 0x0
	s_add_nc_u64 s[0:1], s[0:1], s[2:3]
	s_clause 0x3
	global_store_b128 v1, v[6:9], s[0:1] offset:16
	global_store_b128 v1, v[10:13], s[0:1] offset:32
	global_store_b128 v1, v[2:5], s[0:1]
	global_store_b64 v0, v[14:15], s[0:1] offset:48 scale_offset
	s_endpgm
	.section	.rodata,"a",@progbits
	.p2align	6, 0x0
	.amdhsa_kernel _Z6kernelI18striped_to_blockedxLj256ELj7ELj100EEvPKT0_PKjPS1_
		.amdhsa_group_segment_fixed_size 14336
		.amdhsa_private_segment_fixed_size 0
		.amdhsa_kernarg_size 24
		.amdhsa_user_sgpr_count 2
		.amdhsa_user_sgpr_dispatch_ptr 0
		.amdhsa_user_sgpr_queue_ptr 0
		.amdhsa_user_sgpr_kernarg_segment_ptr 1
		.amdhsa_user_sgpr_dispatch_id 0
		.amdhsa_user_sgpr_kernarg_preload_length 0
		.amdhsa_user_sgpr_kernarg_preload_offset 0
		.amdhsa_user_sgpr_private_segment_size 0
		.amdhsa_wavefront_size32 1
		.amdhsa_uses_dynamic_stack 0
		.amdhsa_enable_private_segment 0
		.amdhsa_system_sgpr_workgroup_id_x 1
		.amdhsa_system_sgpr_workgroup_id_y 0
		.amdhsa_system_sgpr_workgroup_id_z 0
		.amdhsa_system_sgpr_workgroup_info 0
		.amdhsa_system_vgpr_workitem_id 0
		.amdhsa_next_free_vgpr 17
		.amdhsa_next_free_sgpr 7
		.amdhsa_named_barrier_count 0
		.amdhsa_reserve_vcc 0
		.amdhsa_float_round_mode_32 0
		.amdhsa_float_round_mode_16_64 0
		.amdhsa_float_denorm_mode_32 3
		.amdhsa_float_denorm_mode_16_64 3
		.amdhsa_fp16_overflow 0
		.amdhsa_memory_ordered 1
		.amdhsa_forward_progress 1
		.amdhsa_inst_pref_size 3
		.amdhsa_round_robin_scheduling 0
		.amdhsa_exception_fp_ieee_invalid_op 0
		.amdhsa_exception_fp_denorm_src 0
		.amdhsa_exception_fp_ieee_div_zero 0
		.amdhsa_exception_fp_ieee_overflow 0
		.amdhsa_exception_fp_ieee_underflow 0
		.amdhsa_exception_fp_ieee_inexact 0
		.amdhsa_exception_int_div_zero 0
	.end_amdhsa_kernel
	.section	.text._Z6kernelI18striped_to_blockedxLj256ELj7ELj100EEvPKT0_PKjPS1_,"axG",@progbits,_Z6kernelI18striped_to_blockedxLj256ELj7ELj100EEvPKT0_PKjPS1_,comdat
.Lfunc_end46:
	.size	_Z6kernelI18striped_to_blockedxLj256ELj7ELj100EEvPKT0_PKjPS1_, .Lfunc_end46-_Z6kernelI18striped_to_blockedxLj256ELj7ELj100EEvPKT0_PKjPS1_
                                        ; -- End function
	.set _Z6kernelI18striped_to_blockedxLj256ELj7ELj100EEvPKT0_PKjPS1_.num_vgpr, 17
	.set _Z6kernelI18striped_to_blockedxLj256ELj7ELj100EEvPKT0_PKjPS1_.num_agpr, 0
	.set _Z6kernelI18striped_to_blockedxLj256ELj7ELj100EEvPKT0_PKjPS1_.numbered_sgpr, 7
	.set _Z6kernelI18striped_to_blockedxLj256ELj7ELj100EEvPKT0_PKjPS1_.num_named_barrier, 0
	.set _Z6kernelI18striped_to_blockedxLj256ELj7ELj100EEvPKT0_PKjPS1_.private_seg_size, 0
	.set _Z6kernelI18striped_to_blockedxLj256ELj7ELj100EEvPKT0_PKjPS1_.uses_vcc, 0
	.set _Z6kernelI18striped_to_blockedxLj256ELj7ELj100EEvPKT0_PKjPS1_.uses_flat_scratch, 0
	.set _Z6kernelI18striped_to_blockedxLj256ELj7ELj100EEvPKT0_PKjPS1_.has_dyn_sized_stack, 0
	.set _Z6kernelI18striped_to_blockedxLj256ELj7ELj100EEvPKT0_PKjPS1_.has_recursion, 0
	.set _Z6kernelI18striped_to_blockedxLj256ELj7ELj100EEvPKT0_PKjPS1_.has_indirect_call, 0
	.section	.AMDGPU.csdata,"",@progbits
; Kernel info:
; codeLenInByte = 376
; TotalNumSgprs: 7
; NumVgprs: 17
; ScratchSize: 0
; MemoryBound: 1
; FloatMode: 240
; IeeeMode: 1
; LDSByteSize: 14336 bytes/workgroup (compile time only)
; SGPRBlocks: 0
; VGPRBlocks: 1
; NumSGPRsForWavesPerEU: 7
; NumVGPRsForWavesPerEU: 17
; NamedBarCnt: 0
; Occupancy: 16
; WaveLimiterHint : 1
; COMPUTE_PGM_RSRC2:SCRATCH_EN: 0
; COMPUTE_PGM_RSRC2:USER_SGPR: 2
; COMPUTE_PGM_RSRC2:TRAP_HANDLER: 0
; COMPUTE_PGM_RSRC2:TGID_X_EN: 1
; COMPUTE_PGM_RSRC2:TGID_Y_EN: 0
; COMPUTE_PGM_RSRC2:TGID_Z_EN: 0
; COMPUTE_PGM_RSRC2:TIDIG_COMP_CNT: 0
	.section	.text._Z6kernelI18striped_to_blockedxLj256ELj8ELj100EEvPKT0_PKjPS1_,"axG",@progbits,_Z6kernelI18striped_to_blockedxLj256ELj8ELj100EEvPKT0_PKjPS1_,comdat
	.protected	_Z6kernelI18striped_to_blockedxLj256ELj8ELj100EEvPKT0_PKjPS1_ ; -- Begin function _Z6kernelI18striped_to_blockedxLj256ELj8ELj100EEvPKT0_PKjPS1_
	.globl	_Z6kernelI18striped_to_blockedxLj256ELj8ELj100EEvPKT0_PKjPS1_
	.p2align	8
	.type	_Z6kernelI18striped_to_blockedxLj256ELj8ELj100EEvPKT0_PKjPS1_,@function
_Z6kernelI18striped_to_blockedxLj256ELj8ELj100EEvPKT0_PKjPS1_: ; @_Z6kernelI18striped_to_blockedxLj256ELj8ELj100EEvPKT0_PKjPS1_
; %bb.0:
	s_load_b64 s[4:5], s[0:1], 0x0
	s_bfe_u32 s2, ttmp6, 0x4000c
	s_and_b32 s3, ttmp6, 15
	s_add_co_i32 s2, s2, 1
	s_getreg_b32 s6, hwreg(HW_REG_IB_STS2, 6, 4)
	s_mul_i32 s2, ttmp9, s2
	v_or_b32_e32 v1, 0x100, v0
	s_add_co_i32 s3, s3, s2
	s_cmp_eq_u32 s6, 0
	v_or_b32_e32 v18, 0x200, v0
	s_cselect_b32 s2, ttmp9, s3
	s_mov_b32 s3, 0
	s_lshl_b32 s2, s2, 11
	v_dual_lshrrev_b32 v19, 2, v0 :: v_dual_lshrrev_b32 v20, 2, v1
	s_lshl_b64 s[2:3], s[2:3], 3
	v_lshrrev_b32_e32 v18, 2, v18
	v_or_b32_e32 v21, 0x300, v0
	s_delay_alu instid0(VALU_DEP_3)
	v_dual_lshlrev_b32 v1, 3, v0 :: v_dual_bitop2_b32 v19, 56, v19 bitop3:0x40
	s_wait_kmcnt 0x0
	s_add_nc_u64 s[4:5], s[4:5], s[2:3]
	v_and_b32_e32 v20, 0x78, v20
	s_clause 0x7
	global_load_b64 v[2:3], v0, s[4:5] scale_offset
	global_load_b64 v[4:5], v0, s[4:5] offset:2048 scale_offset
	global_load_b64 v[6:7], v0, s[4:5] offset:4096 scale_offset
	;; [unrolled: 1-line block ×7, first 2 shown]
	v_and_b32_e32 v22, 0xb8, v18
	v_lshrrev_b32_e32 v21, 2, v21
	v_dual_add_nc_u32 v18, v19, v1 :: v_dual_add_nc_u32 v19, v20, v1
	v_or_b32_e32 v23, 0x500, v0
	v_or_b32_e32 v24, 0x600, v0
	s_delay_alu instid0(VALU_DEP_4) | instskip(SKIP_4) | instid1(VALU_DEP_3)
	v_and_b32_e32 v21, 0xf8, v21
	v_add_nc_u32_e32 v20, v22, v1
	v_or_b32_e32 v22, 0x400, v0
	v_or_b32_e32 v25, 0x700, v0
	v_dual_lshrrev_b32 v23, 2, v23 :: v_dual_lshrrev_b32 v24, 2, v24
	v_dual_add_nc_u32 v21, v21, v1 :: v_dual_lshrrev_b32 v22, 2, v22
	s_delay_alu instid0(VALU_DEP_3) | instskip(NEXT) | instid1(VALU_DEP_3)
	v_lshrrev_b32_e32 v25, 2, v25
	v_and_b32_e32 v23, 0x178, v23
	s_delay_alu instid0(VALU_DEP_4)
	v_and_b32_e32 v24, 0x1b8, v24
	s_wait_xcnt 0x0
	s_movk_i32 s4, 0x64
	v_and_b32_e32 v22, 0x138, v22
	v_lshlrev_b32_e32 v26, 1, v0
	v_and_b32_e32 v25, 0x1f8, v25
	v_dual_add_nc_u32 v23, v23, v1 :: v_dual_add_nc_u32 v24, v24, v1
	s_delay_alu instid0(VALU_DEP_4) | instskip(NEXT) | instid1(VALU_DEP_4)
	v_add_nc_u32_e32 v22, v22, v1
	v_and_b32_e32 v26, 0x1f8, v26
	s_delay_alu instid0(VALU_DEP_4) | instskip(NEXT) | instid1(VALU_DEP_2)
	v_add_nc_u32_e32 v25, v25, v1
	v_lshl_add_u32 v0, v0, 6, v26
.LBB47_1:                               ; =>This Inner Loop Header: Depth=1
	s_wait_loadcnt 0x7
	ds_store_b64 v18, v[2:3]
	s_wait_loadcnt 0x6
	ds_store_b64 v19, v[4:5] offset:2048
	s_wait_loadcnt 0x5
	ds_store_b64 v20, v[6:7] offset:4096
	s_wait_loadcnt 0x4
	ds_store_b64 v21, v[8:9] offset:6144
	s_wait_loadcnt 0x3
	ds_store_b64 v22, v[10:11] offset:8192
	s_wait_loadcnt 0x2
	ds_store_b64 v23, v[12:13] offset:10240
	s_wait_loadcnt 0x1
	ds_store_b64 v24, v[14:15] offset:12288
	s_wait_loadcnt 0x0
	ds_store_b64 v25, v[16:17] offset:14336
	s_wait_dscnt 0x0
	s_barrier_signal -1
	s_barrier_wait -1
	ds_load_2addr_b64 v[2:5], v0 offset1:1
	ds_load_2addr_b64 v[6:9], v0 offset0:2 offset1:3
	ds_load_2addr_b64 v[10:13], v0 offset0:4 offset1:5
	;; [unrolled: 1-line block ×3, first 2 shown]
	s_add_co_i32 s4, s4, -1
	s_wait_dscnt 0x0
	s_cmp_lg_u32 s4, 0
	s_barrier_signal -1
	s_barrier_wait -1
	s_cbranch_scc1 .LBB47_1
; %bb.2:
	s_load_b64 s[0:1], s[0:1], 0x10
	v_lshlrev_b32_e32 v0, 3, v1
	s_wait_kmcnt 0x0
	s_add_nc_u64 s[0:1], s[0:1], s[2:3]
	s_clause 0x3
	global_store_b128 v0, v[2:5], s[0:1]
	global_store_b128 v0, v[6:9], s[0:1] offset:16
	global_store_b128 v0, v[10:13], s[0:1] offset:32
	global_store_b128 v0, v[14:17], s[0:1] offset:48
	s_endpgm
	.section	.rodata,"a",@progbits
	.p2align	6, 0x0
	.amdhsa_kernel _Z6kernelI18striped_to_blockedxLj256ELj8ELj100EEvPKT0_PKjPS1_
		.amdhsa_group_segment_fixed_size 16896
		.amdhsa_private_segment_fixed_size 0
		.amdhsa_kernarg_size 24
		.amdhsa_user_sgpr_count 2
		.amdhsa_user_sgpr_dispatch_ptr 0
		.amdhsa_user_sgpr_queue_ptr 0
		.amdhsa_user_sgpr_kernarg_segment_ptr 1
		.amdhsa_user_sgpr_dispatch_id 0
		.amdhsa_user_sgpr_kernarg_preload_length 0
		.amdhsa_user_sgpr_kernarg_preload_offset 0
		.amdhsa_user_sgpr_private_segment_size 0
		.amdhsa_wavefront_size32 1
		.amdhsa_uses_dynamic_stack 0
		.amdhsa_enable_private_segment 0
		.amdhsa_system_sgpr_workgroup_id_x 1
		.amdhsa_system_sgpr_workgroup_id_y 0
		.amdhsa_system_sgpr_workgroup_id_z 0
		.amdhsa_system_sgpr_workgroup_info 0
		.amdhsa_system_vgpr_workitem_id 0
		.amdhsa_next_free_vgpr 27
		.amdhsa_next_free_sgpr 7
		.amdhsa_named_barrier_count 0
		.amdhsa_reserve_vcc 0
		.amdhsa_float_round_mode_32 0
		.amdhsa_float_round_mode_16_64 0
		.amdhsa_float_denorm_mode_32 3
		.amdhsa_float_denorm_mode_16_64 3
		.amdhsa_fp16_overflow 0
		.amdhsa_memory_ordered 1
		.amdhsa_forward_progress 1
		.amdhsa_inst_pref_size 6
		.amdhsa_round_robin_scheduling 0
		.amdhsa_exception_fp_ieee_invalid_op 0
		.amdhsa_exception_fp_denorm_src 0
		.amdhsa_exception_fp_ieee_div_zero 0
		.amdhsa_exception_fp_ieee_overflow 0
		.amdhsa_exception_fp_ieee_underflow 0
		.amdhsa_exception_fp_ieee_inexact 0
		.amdhsa_exception_int_div_zero 0
	.end_amdhsa_kernel
	.section	.text._Z6kernelI18striped_to_blockedxLj256ELj8ELj100EEvPKT0_PKjPS1_,"axG",@progbits,_Z6kernelI18striped_to_blockedxLj256ELj8ELj100EEvPKT0_PKjPS1_,comdat
.Lfunc_end47:
	.size	_Z6kernelI18striped_to_blockedxLj256ELj8ELj100EEvPKT0_PKjPS1_, .Lfunc_end47-_Z6kernelI18striped_to_blockedxLj256ELj8ELj100EEvPKT0_PKjPS1_
                                        ; -- End function
	.set _Z6kernelI18striped_to_blockedxLj256ELj8ELj100EEvPKT0_PKjPS1_.num_vgpr, 27
	.set _Z6kernelI18striped_to_blockedxLj256ELj8ELj100EEvPKT0_PKjPS1_.num_agpr, 0
	.set _Z6kernelI18striped_to_blockedxLj256ELj8ELj100EEvPKT0_PKjPS1_.numbered_sgpr, 7
	.set _Z6kernelI18striped_to_blockedxLj256ELj8ELj100EEvPKT0_PKjPS1_.num_named_barrier, 0
	.set _Z6kernelI18striped_to_blockedxLj256ELj8ELj100EEvPKT0_PKjPS1_.private_seg_size, 0
	.set _Z6kernelI18striped_to_blockedxLj256ELj8ELj100EEvPKT0_PKjPS1_.uses_vcc, 0
	.set _Z6kernelI18striped_to_blockedxLj256ELj8ELj100EEvPKT0_PKjPS1_.uses_flat_scratch, 0
	.set _Z6kernelI18striped_to_blockedxLj256ELj8ELj100EEvPKT0_PKjPS1_.has_dyn_sized_stack, 0
	.set _Z6kernelI18striped_to_blockedxLj256ELj8ELj100EEvPKT0_PKjPS1_.has_recursion, 0
	.set _Z6kernelI18striped_to_blockedxLj256ELj8ELj100EEvPKT0_PKjPS1_.has_indirect_call, 0
	.section	.AMDGPU.csdata,"",@progbits
; Kernel info:
; codeLenInByte = 664
; TotalNumSgprs: 7
; NumVgprs: 27
; ScratchSize: 0
; MemoryBound: 0
; FloatMode: 240
; IeeeMode: 1
; LDSByteSize: 16896 bytes/workgroup (compile time only)
; SGPRBlocks: 0
; VGPRBlocks: 1
; NumSGPRsForWavesPerEU: 7
; NumVGPRsForWavesPerEU: 27
; NamedBarCnt: 0
; Occupancy: 16
; WaveLimiterHint : 1
; COMPUTE_PGM_RSRC2:SCRATCH_EN: 0
; COMPUTE_PGM_RSRC2:USER_SGPR: 2
; COMPUTE_PGM_RSRC2:TRAP_HANDLER: 0
; COMPUTE_PGM_RSRC2:TGID_X_EN: 1
; COMPUTE_PGM_RSRC2:TGID_Y_EN: 0
; COMPUTE_PGM_RSRC2:TGID_Z_EN: 0
; COMPUTE_PGM_RSRC2:TIDIG_COMP_CNT: 0
	.section	.text._Z6kernelI18striped_to_blockedN15benchmark_utils11custom_typeIffEELj256ELj1ELj100EEvPKT0_PKjPS4_,"axG",@progbits,_Z6kernelI18striped_to_blockedN15benchmark_utils11custom_typeIffEELj256ELj1ELj100EEvPKT0_PKjPS4_,comdat
	.protected	_Z6kernelI18striped_to_blockedN15benchmark_utils11custom_typeIffEELj256ELj1ELj100EEvPKT0_PKjPS4_ ; -- Begin function _Z6kernelI18striped_to_blockedN15benchmark_utils11custom_typeIffEELj256ELj1ELj100EEvPKT0_PKjPS4_
	.globl	_Z6kernelI18striped_to_blockedN15benchmark_utils11custom_typeIffEELj256ELj1ELj100EEvPKT0_PKjPS4_
	.p2align	8
	.type	_Z6kernelI18striped_to_blockedN15benchmark_utils11custom_typeIffEELj256ELj1ELj100EEvPKT0_PKjPS4_,@function
_Z6kernelI18striped_to_blockedN15benchmark_utils11custom_typeIffEELj256ELj1ELj100EEvPKT0_PKjPS4_: ; @_Z6kernelI18striped_to_blockedN15benchmark_utils11custom_typeIffEELj256ELj1ELj100EEvPKT0_PKjPS4_
; %bb.0:
	s_load_b64 s[4:5], s[0:1], 0x0
	s_bfe_u32 s2, ttmp6, 0x4000c
	s_and_b32 s3, ttmp6, 15
	s_add_co_i32 s2, s2, 1
	s_getreg_b32 s6, hwreg(HW_REG_IB_STS2, 6, 4)
	s_mul_i32 s2, ttmp9, s2
	v_lshlrev_b32_e32 v1, 3, v0
	s_add_co_i32 s3, s3, s2
	s_cmp_eq_u32 s6, 0
	s_cselect_b32 s2, ttmp9, s3
	s_mov_b32 s3, 0
	s_lshl_b32 s2, s2, 8
	s_delay_alu instid0(SALU_CYCLE_1)
	s_lshl_b64 s[2:3], s[2:3], 3
	s_wait_kmcnt 0x0
	s_add_nc_u64 s[4:5], s[4:5], s[2:3]
	global_load_b64 v[2:3], v0, s[4:5] scale_offset
	s_wait_xcnt 0x0
	s_movk_i32 s4, 0x64
.LBB48_1:                               ; =>This Inner Loop Header: Depth=1
	s_wait_loadcnt 0x0
	ds_store_b64 v1, v[2:3]
	s_wait_dscnt 0x0
	s_barrier_signal -1
	s_barrier_wait -1
	ds_load_b64 v[2:3], v1
	s_add_co_i32 s4, s4, -1
	s_wait_dscnt 0x0
	s_cmp_lg_u32 s4, 0
	s_barrier_signal -1
	s_barrier_wait -1
	s_cbranch_scc1 .LBB48_1
; %bb.2:
	s_load_b64 s[0:1], s[0:1], 0x10
	s_wait_kmcnt 0x0
	s_add_nc_u64 s[0:1], s[0:1], s[2:3]
	global_store_b64 v0, v[2:3], s[0:1] scale_offset
	s_endpgm
	.section	.rodata,"a",@progbits
	.p2align	6, 0x0
	.amdhsa_kernel _Z6kernelI18striped_to_blockedN15benchmark_utils11custom_typeIffEELj256ELj1ELj100EEvPKT0_PKjPS4_
		.amdhsa_group_segment_fixed_size 2048
		.amdhsa_private_segment_fixed_size 0
		.amdhsa_kernarg_size 24
		.amdhsa_user_sgpr_count 2
		.amdhsa_user_sgpr_dispatch_ptr 0
		.amdhsa_user_sgpr_queue_ptr 0
		.amdhsa_user_sgpr_kernarg_segment_ptr 1
		.amdhsa_user_sgpr_dispatch_id 0
		.amdhsa_user_sgpr_kernarg_preload_length 0
		.amdhsa_user_sgpr_kernarg_preload_offset 0
		.amdhsa_user_sgpr_private_segment_size 0
		.amdhsa_wavefront_size32 1
		.amdhsa_uses_dynamic_stack 0
		.amdhsa_enable_private_segment 0
		.amdhsa_system_sgpr_workgroup_id_x 1
		.amdhsa_system_sgpr_workgroup_id_y 0
		.amdhsa_system_sgpr_workgroup_id_z 0
		.amdhsa_system_sgpr_workgroup_info 0
		.amdhsa_system_vgpr_workitem_id 0
		.amdhsa_next_free_vgpr 4
		.amdhsa_next_free_sgpr 7
		.amdhsa_named_barrier_count 0
		.amdhsa_reserve_vcc 0
		.amdhsa_float_round_mode_32 0
		.amdhsa_float_round_mode_16_64 0
		.amdhsa_float_denorm_mode_32 3
		.amdhsa_float_denorm_mode_16_64 3
		.amdhsa_fp16_overflow 0
		.amdhsa_memory_ordered 1
		.amdhsa_forward_progress 1
		.amdhsa_inst_pref_size 2
		.amdhsa_round_robin_scheduling 0
		.amdhsa_exception_fp_ieee_invalid_op 0
		.amdhsa_exception_fp_denorm_src 0
		.amdhsa_exception_fp_ieee_div_zero 0
		.amdhsa_exception_fp_ieee_overflow 0
		.amdhsa_exception_fp_ieee_underflow 0
		.amdhsa_exception_fp_ieee_inexact 0
		.amdhsa_exception_int_div_zero 0
	.end_amdhsa_kernel
	.section	.text._Z6kernelI18striped_to_blockedN15benchmark_utils11custom_typeIffEELj256ELj1ELj100EEvPKT0_PKjPS4_,"axG",@progbits,_Z6kernelI18striped_to_blockedN15benchmark_utils11custom_typeIffEELj256ELj1ELj100EEvPKT0_PKjPS4_,comdat
.Lfunc_end48:
	.size	_Z6kernelI18striped_to_blockedN15benchmark_utils11custom_typeIffEELj256ELj1ELj100EEvPKT0_PKjPS4_, .Lfunc_end48-_Z6kernelI18striped_to_blockedN15benchmark_utils11custom_typeIffEELj256ELj1ELj100EEvPKT0_PKjPS4_
                                        ; -- End function
	.set _Z6kernelI18striped_to_blockedN15benchmark_utils11custom_typeIffEELj256ELj1ELj100EEvPKT0_PKjPS4_.num_vgpr, 4
	.set _Z6kernelI18striped_to_blockedN15benchmark_utils11custom_typeIffEELj256ELj1ELj100EEvPKT0_PKjPS4_.num_agpr, 0
	.set _Z6kernelI18striped_to_blockedN15benchmark_utils11custom_typeIffEELj256ELj1ELj100EEvPKT0_PKjPS4_.numbered_sgpr, 7
	.set _Z6kernelI18striped_to_blockedN15benchmark_utils11custom_typeIffEELj256ELj1ELj100EEvPKT0_PKjPS4_.num_named_barrier, 0
	.set _Z6kernelI18striped_to_blockedN15benchmark_utils11custom_typeIffEELj256ELj1ELj100EEvPKT0_PKjPS4_.private_seg_size, 0
	.set _Z6kernelI18striped_to_blockedN15benchmark_utils11custom_typeIffEELj256ELj1ELj100EEvPKT0_PKjPS4_.uses_vcc, 0
	.set _Z6kernelI18striped_to_blockedN15benchmark_utils11custom_typeIffEELj256ELj1ELj100EEvPKT0_PKjPS4_.uses_flat_scratch, 0
	.set _Z6kernelI18striped_to_blockedN15benchmark_utils11custom_typeIffEELj256ELj1ELj100EEvPKT0_PKjPS4_.has_dyn_sized_stack, 0
	.set _Z6kernelI18striped_to_blockedN15benchmark_utils11custom_typeIffEELj256ELj1ELj100EEvPKT0_PKjPS4_.has_recursion, 0
	.set _Z6kernelI18striped_to_blockedN15benchmark_utils11custom_typeIffEELj256ELj1ELj100EEvPKT0_PKjPS4_.has_indirect_call, 0
	.section	.AMDGPU.csdata,"",@progbits
; Kernel info:
; codeLenInByte = 180
; TotalNumSgprs: 7
; NumVgprs: 4
; ScratchSize: 0
; MemoryBound: 0
; FloatMode: 240
; IeeeMode: 1
; LDSByteSize: 2048 bytes/workgroup (compile time only)
; SGPRBlocks: 0
; VGPRBlocks: 0
; NumSGPRsForWavesPerEU: 7
; NumVGPRsForWavesPerEU: 4
; NamedBarCnt: 0
; Occupancy: 16
; WaveLimiterHint : 0
; COMPUTE_PGM_RSRC2:SCRATCH_EN: 0
; COMPUTE_PGM_RSRC2:USER_SGPR: 2
; COMPUTE_PGM_RSRC2:TRAP_HANDLER: 0
; COMPUTE_PGM_RSRC2:TGID_X_EN: 1
; COMPUTE_PGM_RSRC2:TGID_Y_EN: 0
; COMPUTE_PGM_RSRC2:TGID_Z_EN: 0
; COMPUTE_PGM_RSRC2:TIDIG_COMP_CNT: 0
	.section	.text._Z6kernelI18striped_to_blockedN15benchmark_utils11custom_typeIffEELj256ELj2ELj100EEvPKT0_PKjPS4_,"axG",@progbits,_Z6kernelI18striped_to_blockedN15benchmark_utils11custom_typeIffEELj256ELj2ELj100EEvPKT0_PKjPS4_,comdat
	.protected	_Z6kernelI18striped_to_blockedN15benchmark_utils11custom_typeIffEELj256ELj2ELj100EEvPKT0_PKjPS4_ ; -- Begin function _Z6kernelI18striped_to_blockedN15benchmark_utils11custom_typeIffEELj256ELj2ELj100EEvPKT0_PKjPS4_
	.globl	_Z6kernelI18striped_to_blockedN15benchmark_utils11custom_typeIffEELj256ELj2ELj100EEvPKT0_PKjPS4_
	.p2align	8
	.type	_Z6kernelI18striped_to_blockedN15benchmark_utils11custom_typeIffEELj256ELj2ELj100EEvPKT0_PKjPS4_,@function
_Z6kernelI18striped_to_blockedN15benchmark_utils11custom_typeIffEELj256ELj2ELj100EEvPKT0_PKjPS4_: ; @_Z6kernelI18striped_to_blockedN15benchmark_utils11custom_typeIffEELj256ELj2ELj100EEvPKT0_PKjPS4_
; %bb.0:
	s_load_b64 s[4:5], s[0:1], 0x0
	s_bfe_u32 s2, ttmp6, 0x4000c
	s_and_b32 s3, ttmp6, 15
	s_add_co_i32 s2, s2, 1
	s_getreg_b32 s6, hwreg(HW_REG_IB_STS2, 6, 4)
	s_mul_i32 s2, ttmp9, s2
	v_or_b32_e32 v1, 0x100, v0
	s_add_co_i32 s3, s3, s2
	s_cmp_eq_u32 s6, 0
	v_lshrrev_b32_e32 v6, 2, v0
	s_cselect_b32 s2, ttmp9, s3
	s_mov_b32 s3, 0
	s_lshl_b32 s2, s2, 9
	v_lshrrev_b32_e32 v1, 2, v1
	s_lshl_b64 s[2:3], s[2:3], 3
	v_dual_lshrrev_b32 v7, 1, v0 :: v_dual_bitop2_b32 v6, 56, v6 bitop3:0x40
	v_lshlrev_b32_e32 v8, 3, v0
	s_delay_alu instid0(VALU_DEP_3) | instskip(NEXT) | instid1(VALU_DEP_3)
	v_and_b32_e32 v1, 0x78, v1
	v_and_b32_e32 v9, 0x78, v7
	s_wait_kmcnt 0x0
	s_add_nc_u64 s[4:5], s[4:5], s[2:3]
	s_clause 0x1
	global_load_b64 v[2:3], v0, s[4:5] scale_offset
	global_load_b64 v[4:5], v0, s[4:5] offset:2048 scale_offset
	v_add_nc_u32_e32 v7, v1, v8
	v_lshlrev_b32_e32 v1, 1, v0
	v_add_nc_u32_e32 v6, v6, v8
	s_wait_xcnt 0x0
	v_lshl_add_u32 v0, v0, 4, v9
	s_movk_i32 s4, 0x64
.LBB49_1:                               ; =>This Inner Loop Header: Depth=1
	s_wait_loadcnt 0x1
	ds_store_b64 v6, v[2:3]
	s_wait_loadcnt 0x0
	ds_store_b64 v7, v[4:5] offset:2048
	s_wait_dscnt 0x0
	s_barrier_signal -1
	s_barrier_wait -1
	ds_load_2addr_b64 v[2:5], v0 offset1:1
	s_add_co_i32 s4, s4, -1
	s_wait_dscnt 0x0
	s_cmp_lg_u32 s4, 0
	s_barrier_signal -1
	s_barrier_wait -1
	s_cbranch_scc1 .LBB49_1
; %bb.2:
	s_load_b64 s[0:1], s[0:1], 0x10
	v_lshlrev_b32_e32 v0, 3, v1
	s_wait_kmcnt 0x0
	s_add_nc_u64 s[0:1], s[0:1], s[2:3]
	global_store_b128 v0, v[2:5], s[0:1]
	s_endpgm
	.section	.rodata,"a",@progbits
	.p2align	6, 0x0
	.amdhsa_kernel _Z6kernelI18striped_to_blockedN15benchmark_utils11custom_typeIffEELj256ELj2ELj100EEvPKT0_PKjPS4_
		.amdhsa_group_segment_fixed_size 4224
		.amdhsa_private_segment_fixed_size 0
		.amdhsa_kernarg_size 24
		.amdhsa_user_sgpr_count 2
		.amdhsa_user_sgpr_dispatch_ptr 0
		.amdhsa_user_sgpr_queue_ptr 0
		.amdhsa_user_sgpr_kernarg_segment_ptr 1
		.amdhsa_user_sgpr_dispatch_id 0
		.amdhsa_user_sgpr_kernarg_preload_length 0
		.amdhsa_user_sgpr_kernarg_preload_offset 0
		.amdhsa_user_sgpr_private_segment_size 0
		.amdhsa_wavefront_size32 1
		.amdhsa_uses_dynamic_stack 0
		.amdhsa_enable_private_segment 0
		.amdhsa_system_sgpr_workgroup_id_x 1
		.amdhsa_system_sgpr_workgroup_id_y 0
		.amdhsa_system_sgpr_workgroup_id_z 0
		.amdhsa_system_sgpr_workgroup_info 0
		.amdhsa_system_vgpr_workitem_id 0
		.amdhsa_next_free_vgpr 10
		.amdhsa_next_free_sgpr 7
		.amdhsa_named_barrier_count 0
		.amdhsa_reserve_vcc 0
		.amdhsa_float_round_mode_32 0
		.amdhsa_float_round_mode_16_64 0
		.amdhsa_float_denorm_mode_32 3
		.amdhsa_float_denorm_mode_16_64 3
		.amdhsa_fp16_overflow 0
		.amdhsa_memory_ordered 1
		.amdhsa_forward_progress 1
		.amdhsa_inst_pref_size 3
		.amdhsa_round_robin_scheduling 0
		.amdhsa_exception_fp_ieee_invalid_op 0
		.amdhsa_exception_fp_denorm_src 0
		.amdhsa_exception_fp_ieee_div_zero 0
		.amdhsa_exception_fp_ieee_overflow 0
		.amdhsa_exception_fp_ieee_underflow 0
		.amdhsa_exception_fp_ieee_inexact 0
		.amdhsa_exception_int_div_zero 0
	.end_amdhsa_kernel
	.section	.text._Z6kernelI18striped_to_blockedN15benchmark_utils11custom_typeIffEELj256ELj2ELj100EEvPKT0_PKjPS4_,"axG",@progbits,_Z6kernelI18striped_to_blockedN15benchmark_utils11custom_typeIffEELj256ELj2ELj100EEvPKT0_PKjPS4_,comdat
.Lfunc_end49:
	.size	_Z6kernelI18striped_to_blockedN15benchmark_utils11custom_typeIffEELj256ELj2ELj100EEvPKT0_PKjPS4_, .Lfunc_end49-_Z6kernelI18striped_to_blockedN15benchmark_utils11custom_typeIffEELj256ELj2ELj100EEvPKT0_PKjPS4_
                                        ; -- End function
	.set _Z6kernelI18striped_to_blockedN15benchmark_utils11custom_typeIffEELj256ELj2ELj100EEvPKT0_PKjPS4_.num_vgpr, 10
	.set _Z6kernelI18striped_to_blockedN15benchmark_utils11custom_typeIffEELj256ELj2ELj100EEvPKT0_PKjPS4_.num_agpr, 0
	.set _Z6kernelI18striped_to_blockedN15benchmark_utils11custom_typeIffEELj256ELj2ELj100EEvPKT0_PKjPS4_.numbered_sgpr, 7
	.set _Z6kernelI18striped_to_blockedN15benchmark_utils11custom_typeIffEELj256ELj2ELj100EEvPKT0_PKjPS4_.num_named_barrier, 0
	.set _Z6kernelI18striped_to_blockedN15benchmark_utils11custom_typeIffEELj256ELj2ELj100EEvPKT0_PKjPS4_.private_seg_size, 0
	.set _Z6kernelI18striped_to_blockedN15benchmark_utils11custom_typeIffEELj256ELj2ELj100EEvPKT0_PKjPS4_.uses_vcc, 0
	.set _Z6kernelI18striped_to_blockedN15benchmark_utils11custom_typeIffEELj256ELj2ELj100EEvPKT0_PKjPS4_.uses_flat_scratch, 0
	.set _Z6kernelI18striped_to_blockedN15benchmark_utils11custom_typeIffEELj256ELj2ELj100EEvPKT0_PKjPS4_.has_dyn_sized_stack, 0
	.set _Z6kernelI18striped_to_blockedN15benchmark_utils11custom_typeIffEELj256ELj2ELj100EEvPKT0_PKjPS4_.has_recursion, 0
	.set _Z6kernelI18striped_to_blockedN15benchmark_utils11custom_typeIffEELj256ELj2ELj100EEvPKT0_PKjPS4_.has_indirect_call, 0
	.section	.AMDGPU.csdata,"",@progbits
; Kernel info:
; codeLenInByte = 276
; TotalNumSgprs: 7
; NumVgprs: 10
; ScratchSize: 0
; MemoryBound: 0
; FloatMode: 240
; IeeeMode: 1
; LDSByteSize: 4224 bytes/workgroup (compile time only)
; SGPRBlocks: 0
; VGPRBlocks: 0
; NumSGPRsForWavesPerEU: 7
; NumVGPRsForWavesPerEU: 10
; NamedBarCnt: 0
; Occupancy: 16
; WaveLimiterHint : 1
; COMPUTE_PGM_RSRC2:SCRATCH_EN: 0
; COMPUTE_PGM_RSRC2:USER_SGPR: 2
; COMPUTE_PGM_RSRC2:TRAP_HANDLER: 0
; COMPUTE_PGM_RSRC2:TGID_X_EN: 1
; COMPUTE_PGM_RSRC2:TGID_Y_EN: 0
; COMPUTE_PGM_RSRC2:TGID_Z_EN: 0
; COMPUTE_PGM_RSRC2:TIDIG_COMP_CNT: 0
	.section	.text._Z6kernelI18striped_to_blockedN15benchmark_utils11custom_typeIffEELj256ELj3ELj100EEvPKT0_PKjPS4_,"axG",@progbits,_Z6kernelI18striped_to_blockedN15benchmark_utils11custom_typeIffEELj256ELj3ELj100EEvPKT0_PKjPS4_,comdat
	.protected	_Z6kernelI18striped_to_blockedN15benchmark_utils11custom_typeIffEELj256ELj3ELj100EEvPKT0_PKjPS4_ ; -- Begin function _Z6kernelI18striped_to_blockedN15benchmark_utils11custom_typeIffEELj256ELj3ELj100EEvPKT0_PKjPS4_
	.globl	_Z6kernelI18striped_to_blockedN15benchmark_utils11custom_typeIffEELj256ELj3ELj100EEvPKT0_PKjPS4_
	.p2align	8
	.type	_Z6kernelI18striped_to_blockedN15benchmark_utils11custom_typeIffEELj256ELj3ELj100EEvPKT0_PKjPS4_,@function
_Z6kernelI18striped_to_blockedN15benchmark_utils11custom_typeIffEELj256ELj3ELj100EEvPKT0_PKjPS4_: ; @_Z6kernelI18striped_to_blockedN15benchmark_utils11custom_typeIffEELj256ELj3ELj100EEvPKT0_PKjPS4_
; %bb.0:
	s_load_b64 s[4:5], s[0:1], 0x0
	s_bfe_u32 s2, ttmp6, 0x4000c
	s_and_b32 s3, ttmp6, 15
	s_add_co_i32 s2, s2, 1
	s_getreg_b32 s6, hwreg(HW_REG_IB_STS2, 6, 4)
	s_mul_i32 s2, ttmp9, s2
	v_dual_lshlrev_b32 v1, 3, v0 :: v_dual_lshlrev_b32 v8, 4, v0
	s_add_co_i32 s3, s3, s2
	s_cmp_eq_u32 s6, 0
	s_cselect_b32 s2, ttmp9, s3
	s_mov_b32 s3, 0
	s_mulk_i32 s2, 0x300
	v_add_nc_u32_e32 v8, v1, v8
	s_lshl_b64 s[2:3], s[2:3], 3
	s_wait_kmcnt 0x0
	s_add_nc_u64 s[4:5], s[4:5], s[2:3]
	s_clause 0x2
	global_load_b64 v[2:3], v0, s[4:5] scale_offset
	global_load_b64 v[4:5], v0, s[4:5] offset:2048 scale_offset
	global_load_b64 v[6:7], v0, s[4:5] offset:4096 scale_offset
	s_wait_xcnt 0x0
	s_movk_i32 s4, 0x64
.LBB50_1:                               ; =>This Inner Loop Header: Depth=1
	s_wait_loadcnt 0x1
	ds_store_2addr_stride64_b64 v1, v[2:3], v[4:5] offset1:4
	s_wait_loadcnt 0x0
	ds_store_b64 v1, v[6:7] offset:4096
	s_wait_dscnt 0x0
	s_barrier_signal -1
	s_barrier_wait -1
	ds_load_2addr_b64 v[2:5], v8 offset1:1
	ds_load_b64 v[6:7], v8 offset:16
	s_add_co_i32 s4, s4, -1
	s_wait_dscnt 0x0
	s_cmp_lg_u32 s4, 0
	s_barrier_signal -1
	s_barrier_wait -1
	s_cbranch_scc1 .LBB50_1
; %bb.2:
	s_load_b64 s[0:1], s[0:1], 0x10
	v_mul_u32_u24_e32 v0, 3, v0
	s_delay_alu instid0(VALU_DEP_1)
	v_lshlrev_b32_e32 v1, 3, v0
	s_wait_kmcnt 0x0
	s_add_nc_u64 s[0:1], s[0:1], s[2:3]
	s_clause 0x1
	global_store_b128 v1, v[2:5], s[0:1]
	global_store_b64 v0, v[6:7], s[0:1] offset:16 scale_offset
	s_endpgm
	.section	.rodata,"a",@progbits
	.p2align	6, 0x0
	.amdhsa_kernel _Z6kernelI18striped_to_blockedN15benchmark_utils11custom_typeIffEELj256ELj3ELj100EEvPKT0_PKjPS4_
		.amdhsa_group_segment_fixed_size 6144
		.amdhsa_private_segment_fixed_size 0
		.amdhsa_kernarg_size 24
		.amdhsa_user_sgpr_count 2
		.amdhsa_user_sgpr_dispatch_ptr 0
		.amdhsa_user_sgpr_queue_ptr 0
		.amdhsa_user_sgpr_kernarg_segment_ptr 1
		.amdhsa_user_sgpr_dispatch_id 0
		.amdhsa_user_sgpr_kernarg_preload_length 0
		.amdhsa_user_sgpr_kernarg_preload_offset 0
		.amdhsa_user_sgpr_private_segment_size 0
		.amdhsa_wavefront_size32 1
		.amdhsa_uses_dynamic_stack 0
		.amdhsa_enable_private_segment 0
		.amdhsa_system_sgpr_workgroup_id_x 1
		.amdhsa_system_sgpr_workgroup_id_y 0
		.amdhsa_system_sgpr_workgroup_id_z 0
		.amdhsa_system_sgpr_workgroup_info 0
		.amdhsa_system_vgpr_workitem_id 0
		.amdhsa_next_free_vgpr 9
		.amdhsa_next_free_sgpr 7
		.amdhsa_named_barrier_count 0
		.amdhsa_reserve_vcc 0
		.amdhsa_float_round_mode_32 0
		.amdhsa_float_round_mode_16_64 0
		.amdhsa_float_denorm_mode_32 3
		.amdhsa_float_denorm_mode_16_64 3
		.amdhsa_fp16_overflow 0
		.amdhsa_memory_ordered 1
		.amdhsa_forward_progress 1
		.amdhsa_inst_pref_size 3
		.amdhsa_round_robin_scheduling 0
		.amdhsa_exception_fp_ieee_invalid_op 0
		.amdhsa_exception_fp_denorm_src 0
		.amdhsa_exception_fp_ieee_div_zero 0
		.amdhsa_exception_fp_ieee_overflow 0
		.amdhsa_exception_fp_ieee_underflow 0
		.amdhsa_exception_fp_ieee_inexact 0
		.amdhsa_exception_int_div_zero 0
	.end_amdhsa_kernel
	.section	.text._Z6kernelI18striped_to_blockedN15benchmark_utils11custom_typeIffEELj256ELj3ELj100EEvPKT0_PKjPS4_,"axG",@progbits,_Z6kernelI18striped_to_blockedN15benchmark_utils11custom_typeIffEELj256ELj3ELj100EEvPKT0_PKjPS4_,comdat
.Lfunc_end50:
	.size	_Z6kernelI18striped_to_blockedN15benchmark_utils11custom_typeIffEELj256ELj3ELj100EEvPKT0_PKjPS4_, .Lfunc_end50-_Z6kernelI18striped_to_blockedN15benchmark_utils11custom_typeIffEELj256ELj3ELj100EEvPKT0_PKjPS4_
                                        ; -- End function
	.set _Z6kernelI18striped_to_blockedN15benchmark_utils11custom_typeIffEELj256ELj3ELj100EEvPKT0_PKjPS4_.num_vgpr, 9
	.set _Z6kernelI18striped_to_blockedN15benchmark_utils11custom_typeIffEELj256ELj3ELj100EEvPKT0_PKjPS4_.num_agpr, 0
	.set _Z6kernelI18striped_to_blockedN15benchmark_utils11custom_typeIffEELj256ELj3ELj100EEvPKT0_PKjPS4_.numbered_sgpr, 7
	.set _Z6kernelI18striped_to_blockedN15benchmark_utils11custom_typeIffEELj256ELj3ELj100EEvPKT0_PKjPS4_.num_named_barrier, 0
	.set _Z6kernelI18striped_to_blockedN15benchmark_utils11custom_typeIffEELj256ELj3ELj100EEvPKT0_PKjPS4_.private_seg_size, 0
	.set _Z6kernelI18striped_to_blockedN15benchmark_utils11custom_typeIffEELj256ELj3ELj100EEvPKT0_PKjPS4_.uses_vcc, 0
	.set _Z6kernelI18striped_to_blockedN15benchmark_utils11custom_typeIffEELj256ELj3ELj100EEvPKT0_PKjPS4_.uses_flat_scratch, 0
	.set _Z6kernelI18striped_to_blockedN15benchmark_utils11custom_typeIffEELj256ELj3ELj100EEvPKT0_PKjPS4_.has_dyn_sized_stack, 0
	.set _Z6kernelI18striped_to_blockedN15benchmark_utils11custom_typeIffEELj256ELj3ELj100EEvPKT0_PKjPS4_.has_recursion, 0
	.set _Z6kernelI18striped_to_blockedN15benchmark_utils11custom_typeIffEELj256ELj3ELj100EEvPKT0_PKjPS4_.has_indirect_call, 0
	.section	.AMDGPU.csdata,"",@progbits
; Kernel info:
; codeLenInByte = 264
; TotalNumSgprs: 7
; NumVgprs: 9
; ScratchSize: 0
; MemoryBound: 0
; FloatMode: 240
; IeeeMode: 1
; LDSByteSize: 6144 bytes/workgroup (compile time only)
; SGPRBlocks: 0
; VGPRBlocks: 0
; NumSGPRsForWavesPerEU: 7
; NumVGPRsForWavesPerEU: 9
; NamedBarCnt: 0
; Occupancy: 16
; WaveLimiterHint : 1
; COMPUTE_PGM_RSRC2:SCRATCH_EN: 0
; COMPUTE_PGM_RSRC2:USER_SGPR: 2
; COMPUTE_PGM_RSRC2:TRAP_HANDLER: 0
; COMPUTE_PGM_RSRC2:TGID_X_EN: 1
; COMPUTE_PGM_RSRC2:TGID_Y_EN: 0
; COMPUTE_PGM_RSRC2:TGID_Z_EN: 0
; COMPUTE_PGM_RSRC2:TIDIG_COMP_CNT: 0
	.section	.text._Z6kernelI18striped_to_blockedN15benchmark_utils11custom_typeIffEELj256ELj4ELj100EEvPKT0_PKjPS4_,"axG",@progbits,_Z6kernelI18striped_to_blockedN15benchmark_utils11custom_typeIffEELj256ELj4ELj100EEvPKT0_PKjPS4_,comdat
	.protected	_Z6kernelI18striped_to_blockedN15benchmark_utils11custom_typeIffEELj256ELj4ELj100EEvPKT0_PKjPS4_ ; -- Begin function _Z6kernelI18striped_to_blockedN15benchmark_utils11custom_typeIffEELj256ELj4ELj100EEvPKT0_PKjPS4_
	.globl	_Z6kernelI18striped_to_blockedN15benchmark_utils11custom_typeIffEELj256ELj4ELj100EEvPKT0_PKjPS4_
	.p2align	8
	.type	_Z6kernelI18striped_to_blockedN15benchmark_utils11custom_typeIffEELj256ELj4ELj100EEvPKT0_PKjPS4_,@function
_Z6kernelI18striped_to_blockedN15benchmark_utils11custom_typeIffEELj256ELj4ELj100EEvPKT0_PKjPS4_: ; @_Z6kernelI18striped_to_blockedN15benchmark_utils11custom_typeIffEELj256ELj4ELj100EEvPKT0_PKjPS4_
; %bb.0:
	s_load_b64 s[4:5], s[0:1], 0x0
	s_bfe_u32 s2, ttmp6, 0x4000c
	s_and_b32 s3, ttmp6, 15
	s_add_co_i32 s2, s2, 1
	s_getreg_b32 s6, hwreg(HW_REG_IB_STS2, 6, 4)
	s_mul_i32 s2, ttmp9, s2
	v_or_b32_e32 v10, 0x100, v0
	s_add_co_i32 s3, s3, s2
	s_cmp_eq_u32 s6, 0
	v_lshrrev_b32_e32 v1, 2, v0
	s_cselect_b32 s2, ttmp9, s3
	s_mov_b32 s3, 0
	s_lshl_b32 s2, s2, 10
	v_or_b32_e32 v11, 0x200, v0
	s_lshl_b64 s[2:3], s[2:3], 3
	v_lshrrev_b32_e32 v10, 2, v10
	v_or_b32_e32 v12, 0x300, v0
	s_delay_alu instid0(VALU_DEP_3)
	v_dual_lshrrev_b32 v11, 2, v11 :: v_dual_bitop2_b32 v1, 56, v1 bitop3:0x40
	v_lshlrev_b32_e32 v13, 3, v0
	s_wait_kmcnt 0x0
	s_add_nc_u64 s[4:5], s[4:5], s[2:3]
	v_and_b32_e32 v10, 0x78, v10
	s_clause 0x3
	global_load_b64 v[2:3], v0, s[4:5] scale_offset
	global_load_b64 v[4:5], v0, s[4:5] offset:2048 scale_offset
	global_load_b64 v[6:7], v0, s[4:5] offset:4096 scale_offset
	global_load_b64 v[8:9], v0, s[4:5] offset:6144 scale_offset
	v_and_b32_e32 v14, 0xb8, v11
	v_and_b32_e32 v16, 0xf8, v0
	s_wait_xcnt 0x0
	s_movk_i32 s4, 0x64
	v_dual_add_nc_u32 v11, v10, v13 :: v_dual_lshlrev_b32 v10, 2, v0
	v_dual_lshrrev_b32 v12, 2, v12 :: v_dual_add_nc_u32 v1, v1, v13
	v_lshl_add_u32 v0, v0, 5, v16
	s_delay_alu instid0(VALU_DEP_2) | instskip(NEXT) | instid1(VALU_DEP_1)
	v_and_b32_e32 v15, 0xf8, v12
	v_dual_add_nc_u32 v12, v14, v13 :: v_dual_add_nc_u32 v13, v15, v13
.LBB51_1:                               ; =>This Inner Loop Header: Depth=1
	s_wait_loadcnt 0x3
	ds_store_b64 v1, v[2:3]
	s_wait_loadcnt 0x2
	ds_store_b64 v11, v[4:5] offset:2048
	s_wait_loadcnt 0x1
	ds_store_b64 v12, v[6:7] offset:4096
	;; [unrolled: 2-line block ×3, first 2 shown]
	s_wait_dscnt 0x0
	s_barrier_signal -1
	s_barrier_wait -1
	ds_load_2addr_b64 v[2:5], v0 offset1:1
	ds_load_2addr_b64 v[6:9], v0 offset0:2 offset1:3
	s_add_co_i32 s4, s4, -1
	s_wait_dscnt 0x0
	s_cmp_lg_u32 s4, 0
	s_barrier_signal -1
	s_barrier_wait -1
	s_cbranch_scc1 .LBB51_1
; %bb.2:
	s_load_b64 s[0:1], s[0:1], 0x10
	v_lshlrev_b32_e32 v0, 3, v10
	s_wait_kmcnt 0x0
	s_add_nc_u64 s[0:1], s[0:1], s[2:3]
	s_clause 0x1
	global_store_b128 v0, v[2:5], s[0:1]
	global_store_b128 v0, v[6:9], s[0:1] offset:16
	s_endpgm
	.section	.rodata,"a",@progbits
	.p2align	6, 0x0
	.amdhsa_kernel _Z6kernelI18striped_to_blockedN15benchmark_utils11custom_typeIffEELj256ELj4ELj100EEvPKT0_PKjPS4_
		.amdhsa_group_segment_fixed_size 8448
		.amdhsa_private_segment_fixed_size 0
		.amdhsa_kernarg_size 24
		.amdhsa_user_sgpr_count 2
		.amdhsa_user_sgpr_dispatch_ptr 0
		.amdhsa_user_sgpr_queue_ptr 0
		.amdhsa_user_sgpr_kernarg_segment_ptr 1
		.amdhsa_user_sgpr_dispatch_id 0
		.amdhsa_user_sgpr_kernarg_preload_length 0
		.amdhsa_user_sgpr_kernarg_preload_offset 0
		.amdhsa_user_sgpr_private_segment_size 0
		.amdhsa_wavefront_size32 1
		.amdhsa_uses_dynamic_stack 0
		.amdhsa_enable_private_segment 0
		.amdhsa_system_sgpr_workgroup_id_x 1
		.amdhsa_system_sgpr_workgroup_id_y 0
		.amdhsa_system_sgpr_workgroup_id_z 0
		.amdhsa_system_sgpr_workgroup_info 0
		.amdhsa_system_vgpr_workitem_id 0
		.amdhsa_next_free_vgpr 17
		.amdhsa_next_free_sgpr 7
		.amdhsa_named_barrier_count 0
		.amdhsa_reserve_vcc 0
		.amdhsa_float_round_mode_32 0
		.amdhsa_float_round_mode_16_64 0
		.amdhsa_float_denorm_mode_32 3
		.amdhsa_float_denorm_mode_16_64 3
		.amdhsa_fp16_overflow 0
		.amdhsa_memory_ordered 1
		.amdhsa_forward_progress 1
		.amdhsa_inst_pref_size 4
		.amdhsa_round_robin_scheduling 0
		.amdhsa_exception_fp_ieee_invalid_op 0
		.amdhsa_exception_fp_denorm_src 0
		.amdhsa_exception_fp_ieee_div_zero 0
		.amdhsa_exception_fp_ieee_overflow 0
		.amdhsa_exception_fp_ieee_underflow 0
		.amdhsa_exception_fp_ieee_inexact 0
		.amdhsa_exception_int_div_zero 0
	.end_amdhsa_kernel
	.section	.text._Z6kernelI18striped_to_blockedN15benchmark_utils11custom_typeIffEELj256ELj4ELj100EEvPKT0_PKjPS4_,"axG",@progbits,_Z6kernelI18striped_to_blockedN15benchmark_utils11custom_typeIffEELj256ELj4ELj100EEvPKT0_PKjPS4_,comdat
.Lfunc_end51:
	.size	_Z6kernelI18striped_to_blockedN15benchmark_utils11custom_typeIffEELj256ELj4ELj100EEvPKT0_PKjPS4_, .Lfunc_end51-_Z6kernelI18striped_to_blockedN15benchmark_utils11custom_typeIffEELj256ELj4ELj100EEvPKT0_PKjPS4_
                                        ; -- End function
	.set _Z6kernelI18striped_to_blockedN15benchmark_utils11custom_typeIffEELj256ELj4ELj100EEvPKT0_PKjPS4_.num_vgpr, 17
	.set _Z6kernelI18striped_to_blockedN15benchmark_utils11custom_typeIffEELj256ELj4ELj100EEvPKT0_PKjPS4_.num_agpr, 0
	.set _Z6kernelI18striped_to_blockedN15benchmark_utils11custom_typeIffEELj256ELj4ELj100EEvPKT0_PKjPS4_.numbered_sgpr, 7
	.set _Z6kernelI18striped_to_blockedN15benchmark_utils11custom_typeIffEELj256ELj4ELj100EEvPKT0_PKjPS4_.num_named_barrier, 0
	.set _Z6kernelI18striped_to_blockedN15benchmark_utils11custom_typeIffEELj256ELj4ELj100EEvPKT0_PKjPS4_.private_seg_size, 0
	.set _Z6kernelI18striped_to_blockedN15benchmark_utils11custom_typeIffEELj256ELj4ELj100EEvPKT0_PKjPS4_.uses_vcc, 0
	.set _Z6kernelI18striped_to_blockedN15benchmark_utils11custom_typeIffEELj256ELj4ELj100EEvPKT0_PKjPS4_.uses_flat_scratch, 0
	.set _Z6kernelI18striped_to_blockedN15benchmark_utils11custom_typeIffEELj256ELj4ELj100EEvPKT0_PKjPS4_.has_dyn_sized_stack, 0
	.set _Z6kernelI18striped_to_blockedN15benchmark_utils11custom_typeIffEELj256ELj4ELj100EEvPKT0_PKjPS4_.has_recursion, 0
	.set _Z6kernelI18striped_to_blockedN15benchmark_utils11custom_typeIffEELj256ELj4ELj100EEvPKT0_PKjPS4_.has_indirect_call, 0
	.section	.AMDGPU.csdata,"",@progbits
; Kernel info:
; codeLenInByte = 408
; TotalNumSgprs: 7
; NumVgprs: 17
; ScratchSize: 0
; MemoryBound: 0
; FloatMode: 240
; IeeeMode: 1
; LDSByteSize: 8448 bytes/workgroup (compile time only)
; SGPRBlocks: 0
; VGPRBlocks: 1
; NumSGPRsForWavesPerEU: 7
; NumVGPRsForWavesPerEU: 17
; NamedBarCnt: 0
; Occupancy: 16
; WaveLimiterHint : 1
; COMPUTE_PGM_RSRC2:SCRATCH_EN: 0
; COMPUTE_PGM_RSRC2:USER_SGPR: 2
; COMPUTE_PGM_RSRC2:TRAP_HANDLER: 0
; COMPUTE_PGM_RSRC2:TGID_X_EN: 1
; COMPUTE_PGM_RSRC2:TGID_Y_EN: 0
; COMPUTE_PGM_RSRC2:TGID_Z_EN: 0
; COMPUTE_PGM_RSRC2:TIDIG_COMP_CNT: 0
	.section	.text._Z6kernelI18striped_to_blockedN15benchmark_utils11custom_typeIffEELj256ELj7ELj100EEvPKT0_PKjPS4_,"axG",@progbits,_Z6kernelI18striped_to_blockedN15benchmark_utils11custom_typeIffEELj256ELj7ELj100EEvPKT0_PKjPS4_,comdat
	.protected	_Z6kernelI18striped_to_blockedN15benchmark_utils11custom_typeIffEELj256ELj7ELj100EEvPKT0_PKjPS4_ ; -- Begin function _Z6kernelI18striped_to_blockedN15benchmark_utils11custom_typeIffEELj256ELj7ELj100EEvPKT0_PKjPS4_
	.globl	_Z6kernelI18striped_to_blockedN15benchmark_utils11custom_typeIffEELj256ELj7ELj100EEvPKT0_PKjPS4_
	.p2align	8
	.type	_Z6kernelI18striped_to_blockedN15benchmark_utils11custom_typeIffEELj256ELj7ELj100EEvPKT0_PKjPS4_,@function
_Z6kernelI18striped_to_blockedN15benchmark_utils11custom_typeIffEELj256ELj7ELj100EEvPKT0_PKjPS4_: ; @_Z6kernelI18striped_to_blockedN15benchmark_utils11custom_typeIffEELj256ELj7ELj100EEvPKT0_PKjPS4_
; %bb.0:
	s_load_b64 s[4:5], s[0:1], 0x0
	s_bfe_u32 s2, ttmp6, 0x4000c
	s_and_b32 s3, ttmp6, 15
	s_add_co_i32 s2, s2, 1
	s_getreg_b32 s6, hwreg(HW_REG_IB_STS2, 6, 4)
	s_mul_i32 s2, ttmp9, s2
	v_lshlrev_b32_e32 v1, 3, v0
	s_add_co_i32 s3, s3, s2
	s_cmp_eq_u32 s6, 0
	v_mul_u32_u24_e32 v16, 48, v0
	s_cselect_b32 s2, ttmp9, s3
	s_mov_b32 s3, 0
	s_mulk_i32 s2, 0x700
	s_delay_alu instid0(SALU_CYCLE_1)
	s_lshl_b64 s[2:3], s[2:3], 3
	v_add_nc_u32_e32 v16, v1, v16
	s_wait_kmcnt 0x0
	s_add_nc_u64 s[4:5], s[4:5], s[2:3]
	s_clause 0x6
	global_load_b64 v[2:3], v0, s[4:5] scale_offset
	global_load_b64 v[4:5], v0, s[4:5] offset:2048 scale_offset
	global_load_b64 v[6:7], v0, s[4:5] offset:4096 scale_offset
	;; [unrolled: 1-line block ×6, first 2 shown]
	s_wait_xcnt 0x0
	s_movk_i32 s4, 0x64
.LBB52_1:                               ; =>This Inner Loop Header: Depth=1
	s_wait_loadcnt 0x5
	ds_store_2addr_stride64_b64 v1, v[2:3], v[4:5] offset1:4
	s_wait_loadcnt 0x3
	ds_store_2addr_stride64_b64 v1, v[6:7], v[8:9] offset0:8 offset1:12
	s_wait_loadcnt 0x1
	ds_store_2addr_stride64_b64 v1, v[10:11], v[12:13] offset0:16 offset1:20
	s_wait_loadcnt 0x0
	ds_store_b64 v1, v[14:15] offset:12288
	s_wait_dscnt 0x0
	s_barrier_signal -1
	s_barrier_wait -1
	ds_load_2addr_b64 v[2:5], v16 offset1:1
	ds_load_2addr_b64 v[6:9], v16 offset0:2 offset1:3
	ds_load_2addr_b64 v[10:13], v16 offset0:4 offset1:5
	ds_load_b64 v[14:15], v16 offset:48
	s_add_co_i32 s4, s4, -1
	s_wait_dscnt 0x0
	s_cmp_lg_u32 s4, 0
	s_barrier_signal -1
	s_barrier_wait -1
	s_cbranch_scc1 .LBB52_1
; %bb.2:
	s_load_b64 s[0:1], s[0:1], 0x10
	v_mul_u32_u24_e32 v0, 7, v0
	s_delay_alu instid0(VALU_DEP_1)
	v_lshlrev_b32_e32 v1, 3, v0
	s_wait_kmcnt 0x0
	s_add_nc_u64 s[0:1], s[0:1], s[2:3]
	s_clause 0x3
	global_store_b128 v1, v[6:9], s[0:1] offset:16
	global_store_b128 v1, v[10:13], s[0:1] offset:32
	global_store_b128 v1, v[2:5], s[0:1]
	global_store_b64 v0, v[14:15], s[0:1] offset:48 scale_offset
	s_endpgm
	.section	.rodata,"a",@progbits
	.p2align	6, 0x0
	.amdhsa_kernel _Z6kernelI18striped_to_blockedN15benchmark_utils11custom_typeIffEELj256ELj7ELj100EEvPKT0_PKjPS4_
		.amdhsa_group_segment_fixed_size 14336
		.amdhsa_private_segment_fixed_size 0
		.amdhsa_kernarg_size 24
		.amdhsa_user_sgpr_count 2
		.amdhsa_user_sgpr_dispatch_ptr 0
		.amdhsa_user_sgpr_queue_ptr 0
		.amdhsa_user_sgpr_kernarg_segment_ptr 1
		.amdhsa_user_sgpr_dispatch_id 0
		.amdhsa_user_sgpr_kernarg_preload_length 0
		.amdhsa_user_sgpr_kernarg_preload_offset 0
		.amdhsa_user_sgpr_private_segment_size 0
		.amdhsa_wavefront_size32 1
		.amdhsa_uses_dynamic_stack 0
		.amdhsa_enable_private_segment 0
		.amdhsa_system_sgpr_workgroup_id_x 1
		.amdhsa_system_sgpr_workgroup_id_y 0
		.amdhsa_system_sgpr_workgroup_id_z 0
		.amdhsa_system_sgpr_workgroup_info 0
		.amdhsa_system_vgpr_workitem_id 0
		.amdhsa_next_free_vgpr 17
		.amdhsa_next_free_sgpr 7
		.amdhsa_named_barrier_count 0
		.amdhsa_reserve_vcc 0
		.amdhsa_float_round_mode_32 0
		.amdhsa_float_round_mode_16_64 0
		.amdhsa_float_denorm_mode_32 3
		.amdhsa_float_denorm_mode_16_64 3
		.amdhsa_fp16_overflow 0
		.amdhsa_memory_ordered 1
		.amdhsa_forward_progress 1
		.amdhsa_inst_pref_size 3
		.amdhsa_round_robin_scheduling 0
		.amdhsa_exception_fp_ieee_invalid_op 0
		.amdhsa_exception_fp_denorm_src 0
		.amdhsa_exception_fp_ieee_div_zero 0
		.amdhsa_exception_fp_ieee_overflow 0
		.amdhsa_exception_fp_ieee_underflow 0
		.amdhsa_exception_fp_ieee_inexact 0
		.amdhsa_exception_int_div_zero 0
	.end_amdhsa_kernel
	.section	.text._Z6kernelI18striped_to_blockedN15benchmark_utils11custom_typeIffEELj256ELj7ELj100EEvPKT0_PKjPS4_,"axG",@progbits,_Z6kernelI18striped_to_blockedN15benchmark_utils11custom_typeIffEELj256ELj7ELj100EEvPKT0_PKjPS4_,comdat
.Lfunc_end52:
	.size	_Z6kernelI18striped_to_blockedN15benchmark_utils11custom_typeIffEELj256ELj7ELj100EEvPKT0_PKjPS4_, .Lfunc_end52-_Z6kernelI18striped_to_blockedN15benchmark_utils11custom_typeIffEELj256ELj7ELj100EEvPKT0_PKjPS4_
                                        ; -- End function
	.set _Z6kernelI18striped_to_blockedN15benchmark_utils11custom_typeIffEELj256ELj7ELj100EEvPKT0_PKjPS4_.num_vgpr, 17
	.set _Z6kernelI18striped_to_blockedN15benchmark_utils11custom_typeIffEELj256ELj7ELj100EEvPKT0_PKjPS4_.num_agpr, 0
	.set _Z6kernelI18striped_to_blockedN15benchmark_utils11custom_typeIffEELj256ELj7ELj100EEvPKT0_PKjPS4_.numbered_sgpr, 7
	.set _Z6kernelI18striped_to_blockedN15benchmark_utils11custom_typeIffEELj256ELj7ELj100EEvPKT0_PKjPS4_.num_named_barrier, 0
	.set _Z6kernelI18striped_to_blockedN15benchmark_utils11custom_typeIffEELj256ELj7ELj100EEvPKT0_PKjPS4_.private_seg_size, 0
	.set _Z6kernelI18striped_to_blockedN15benchmark_utils11custom_typeIffEELj256ELj7ELj100EEvPKT0_PKjPS4_.uses_vcc, 0
	.set _Z6kernelI18striped_to_blockedN15benchmark_utils11custom_typeIffEELj256ELj7ELj100EEvPKT0_PKjPS4_.uses_flat_scratch, 0
	.set _Z6kernelI18striped_to_blockedN15benchmark_utils11custom_typeIffEELj256ELj7ELj100EEvPKT0_PKjPS4_.has_dyn_sized_stack, 0
	.set _Z6kernelI18striped_to_blockedN15benchmark_utils11custom_typeIffEELj256ELj7ELj100EEvPKT0_PKjPS4_.has_recursion, 0
	.set _Z6kernelI18striped_to_blockedN15benchmark_utils11custom_typeIffEELj256ELj7ELj100EEvPKT0_PKjPS4_.has_indirect_call, 0
	.section	.AMDGPU.csdata,"",@progbits
; Kernel info:
; codeLenInByte = 376
; TotalNumSgprs: 7
; NumVgprs: 17
; ScratchSize: 0
; MemoryBound: 0
; FloatMode: 240
; IeeeMode: 1
; LDSByteSize: 14336 bytes/workgroup (compile time only)
; SGPRBlocks: 0
; VGPRBlocks: 1
; NumSGPRsForWavesPerEU: 7
; NumVGPRsForWavesPerEU: 17
; NamedBarCnt: 0
; Occupancy: 16
; WaveLimiterHint : 1
; COMPUTE_PGM_RSRC2:SCRATCH_EN: 0
; COMPUTE_PGM_RSRC2:USER_SGPR: 2
; COMPUTE_PGM_RSRC2:TRAP_HANDLER: 0
; COMPUTE_PGM_RSRC2:TGID_X_EN: 1
; COMPUTE_PGM_RSRC2:TGID_Y_EN: 0
; COMPUTE_PGM_RSRC2:TGID_Z_EN: 0
; COMPUTE_PGM_RSRC2:TIDIG_COMP_CNT: 0
	.section	.text._Z6kernelI18striped_to_blockedN15benchmark_utils11custom_typeIffEELj256ELj8ELj100EEvPKT0_PKjPS4_,"axG",@progbits,_Z6kernelI18striped_to_blockedN15benchmark_utils11custom_typeIffEELj256ELj8ELj100EEvPKT0_PKjPS4_,comdat
	.protected	_Z6kernelI18striped_to_blockedN15benchmark_utils11custom_typeIffEELj256ELj8ELj100EEvPKT0_PKjPS4_ ; -- Begin function _Z6kernelI18striped_to_blockedN15benchmark_utils11custom_typeIffEELj256ELj8ELj100EEvPKT0_PKjPS4_
	.globl	_Z6kernelI18striped_to_blockedN15benchmark_utils11custom_typeIffEELj256ELj8ELj100EEvPKT0_PKjPS4_
	.p2align	8
	.type	_Z6kernelI18striped_to_blockedN15benchmark_utils11custom_typeIffEELj256ELj8ELj100EEvPKT0_PKjPS4_,@function
_Z6kernelI18striped_to_blockedN15benchmark_utils11custom_typeIffEELj256ELj8ELj100EEvPKT0_PKjPS4_: ; @_Z6kernelI18striped_to_blockedN15benchmark_utils11custom_typeIffEELj256ELj8ELj100EEvPKT0_PKjPS4_
; %bb.0:
	s_load_b64 s[4:5], s[0:1], 0x0
	s_bfe_u32 s2, ttmp6, 0x4000c
	s_and_b32 s3, ttmp6, 15
	s_add_co_i32 s2, s2, 1
	s_getreg_b32 s6, hwreg(HW_REG_IB_STS2, 6, 4)
	s_mul_i32 s2, ttmp9, s2
	v_or_b32_e32 v1, 0x100, v0
	s_add_co_i32 s3, s3, s2
	s_cmp_eq_u32 s6, 0
	v_or_b32_e32 v18, 0x200, v0
	s_cselect_b32 s2, ttmp9, s3
	s_mov_b32 s3, 0
	s_lshl_b32 s2, s2, 11
	v_dual_lshrrev_b32 v19, 2, v0 :: v_dual_lshrrev_b32 v20, 2, v1
	s_lshl_b64 s[2:3], s[2:3], 3
	v_lshrrev_b32_e32 v18, 2, v18
	v_or_b32_e32 v21, 0x300, v0
	s_delay_alu instid0(VALU_DEP_3)
	v_dual_lshlrev_b32 v1, 3, v0 :: v_dual_bitop2_b32 v19, 56, v19 bitop3:0x40
	s_wait_kmcnt 0x0
	s_add_nc_u64 s[4:5], s[4:5], s[2:3]
	v_and_b32_e32 v20, 0x78, v20
	s_clause 0x7
	global_load_b64 v[2:3], v0, s[4:5] scale_offset
	global_load_b64 v[4:5], v0, s[4:5] offset:2048 scale_offset
	global_load_b64 v[6:7], v0, s[4:5] offset:4096 scale_offset
	;; [unrolled: 1-line block ×7, first 2 shown]
	v_and_b32_e32 v22, 0xb8, v18
	v_lshrrev_b32_e32 v21, 2, v21
	v_dual_add_nc_u32 v18, v19, v1 :: v_dual_add_nc_u32 v19, v20, v1
	v_or_b32_e32 v23, 0x500, v0
	v_or_b32_e32 v24, 0x600, v0
	s_delay_alu instid0(VALU_DEP_4) | instskip(SKIP_4) | instid1(VALU_DEP_3)
	v_and_b32_e32 v21, 0xf8, v21
	v_add_nc_u32_e32 v20, v22, v1
	v_or_b32_e32 v22, 0x400, v0
	v_or_b32_e32 v25, 0x700, v0
	v_dual_lshrrev_b32 v23, 2, v23 :: v_dual_lshrrev_b32 v24, 2, v24
	v_dual_add_nc_u32 v21, v21, v1 :: v_dual_lshrrev_b32 v22, 2, v22
	s_delay_alu instid0(VALU_DEP_3) | instskip(NEXT) | instid1(VALU_DEP_3)
	v_lshrrev_b32_e32 v25, 2, v25
	v_and_b32_e32 v23, 0x178, v23
	s_delay_alu instid0(VALU_DEP_4)
	v_and_b32_e32 v24, 0x1b8, v24
	s_wait_xcnt 0x0
	s_movk_i32 s4, 0x64
	v_and_b32_e32 v22, 0x138, v22
	v_lshlrev_b32_e32 v26, 1, v0
	v_and_b32_e32 v25, 0x1f8, v25
	v_dual_add_nc_u32 v23, v23, v1 :: v_dual_add_nc_u32 v24, v24, v1
	s_delay_alu instid0(VALU_DEP_4) | instskip(NEXT) | instid1(VALU_DEP_4)
	v_add_nc_u32_e32 v22, v22, v1
	v_and_b32_e32 v26, 0x1f8, v26
	s_delay_alu instid0(VALU_DEP_4) | instskip(NEXT) | instid1(VALU_DEP_2)
	v_add_nc_u32_e32 v25, v25, v1
	v_lshl_add_u32 v0, v0, 6, v26
.LBB53_1:                               ; =>This Inner Loop Header: Depth=1
	s_wait_loadcnt 0x7
	ds_store_b64 v18, v[2:3]
	s_wait_loadcnt 0x6
	ds_store_b64 v19, v[4:5] offset:2048
	s_wait_loadcnt 0x5
	ds_store_b64 v20, v[6:7] offset:4096
	;; [unrolled: 2-line block ×7, first 2 shown]
	s_wait_dscnt 0x0
	s_barrier_signal -1
	s_barrier_wait -1
	ds_load_2addr_b64 v[2:5], v0 offset1:1
	ds_load_2addr_b64 v[6:9], v0 offset0:2 offset1:3
	ds_load_2addr_b64 v[10:13], v0 offset0:4 offset1:5
	;; [unrolled: 1-line block ×3, first 2 shown]
	s_add_co_i32 s4, s4, -1
	s_wait_dscnt 0x0
	s_cmp_lg_u32 s4, 0
	s_barrier_signal -1
	s_barrier_wait -1
	s_cbranch_scc1 .LBB53_1
; %bb.2:
	s_load_b64 s[0:1], s[0:1], 0x10
	v_lshlrev_b32_e32 v0, 3, v1
	s_wait_kmcnt 0x0
	s_add_nc_u64 s[0:1], s[0:1], s[2:3]
	s_clause 0x3
	global_store_b128 v0, v[2:5], s[0:1]
	global_store_b128 v0, v[6:9], s[0:1] offset:16
	global_store_b128 v0, v[10:13], s[0:1] offset:32
	;; [unrolled: 1-line block ×3, first 2 shown]
	s_endpgm
	.section	.rodata,"a",@progbits
	.p2align	6, 0x0
	.amdhsa_kernel _Z6kernelI18striped_to_blockedN15benchmark_utils11custom_typeIffEELj256ELj8ELj100EEvPKT0_PKjPS4_
		.amdhsa_group_segment_fixed_size 16896
		.amdhsa_private_segment_fixed_size 0
		.amdhsa_kernarg_size 24
		.amdhsa_user_sgpr_count 2
		.amdhsa_user_sgpr_dispatch_ptr 0
		.amdhsa_user_sgpr_queue_ptr 0
		.amdhsa_user_sgpr_kernarg_segment_ptr 1
		.amdhsa_user_sgpr_dispatch_id 0
		.amdhsa_user_sgpr_kernarg_preload_length 0
		.amdhsa_user_sgpr_kernarg_preload_offset 0
		.amdhsa_user_sgpr_private_segment_size 0
		.amdhsa_wavefront_size32 1
		.amdhsa_uses_dynamic_stack 0
		.amdhsa_enable_private_segment 0
		.amdhsa_system_sgpr_workgroup_id_x 1
		.amdhsa_system_sgpr_workgroup_id_y 0
		.amdhsa_system_sgpr_workgroup_id_z 0
		.amdhsa_system_sgpr_workgroup_info 0
		.amdhsa_system_vgpr_workitem_id 0
		.amdhsa_next_free_vgpr 27
		.amdhsa_next_free_sgpr 7
		.amdhsa_named_barrier_count 0
		.amdhsa_reserve_vcc 0
		.amdhsa_float_round_mode_32 0
		.amdhsa_float_round_mode_16_64 0
		.amdhsa_float_denorm_mode_32 3
		.amdhsa_float_denorm_mode_16_64 3
		.amdhsa_fp16_overflow 0
		.amdhsa_memory_ordered 1
		.amdhsa_forward_progress 1
		.amdhsa_inst_pref_size 6
		.amdhsa_round_robin_scheduling 0
		.amdhsa_exception_fp_ieee_invalid_op 0
		.amdhsa_exception_fp_denorm_src 0
		.amdhsa_exception_fp_ieee_div_zero 0
		.amdhsa_exception_fp_ieee_overflow 0
		.amdhsa_exception_fp_ieee_underflow 0
		.amdhsa_exception_fp_ieee_inexact 0
		.amdhsa_exception_int_div_zero 0
	.end_amdhsa_kernel
	.section	.text._Z6kernelI18striped_to_blockedN15benchmark_utils11custom_typeIffEELj256ELj8ELj100EEvPKT0_PKjPS4_,"axG",@progbits,_Z6kernelI18striped_to_blockedN15benchmark_utils11custom_typeIffEELj256ELj8ELj100EEvPKT0_PKjPS4_,comdat
.Lfunc_end53:
	.size	_Z6kernelI18striped_to_blockedN15benchmark_utils11custom_typeIffEELj256ELj8ELj100EEvPKT0_PKjPS4_, .Lfunc_end53-_Z6kernelI18striped_to_blockedN15benchmark_utils11custom_typeIffEELj256ELj8ELj100EEvPKT0_PKjPS4_
                                        ; -- End function
	.set _Z6kernelI18striped_to_blockedN15benchmark_utils11custom_typeIffEELj256ELj8ELj100EEvPKT0_PKjPS4_.num_vgpr, 27
	.set _Z6kernelI18striped_to_blockedN15benchmark_utils11custom_typeIffEELj256ELj8ELj100EEvPKT0_PKjPS4_.num_agpr, 0
	.set _Z6kernelI18striped_to_blockedN15benchmark_utils11custom_typeIffEELj256ELj8ELj100EEvPKT0_PKjPS4_.numbered_sgpr, 7
	.set _Z6kernelI18striped_to_blockedN15benchmark_utils11custom_typeIffEELj256ELj8ELj100EEvPKT0_PKjPS4_.num_named_barrier, 0
	.set _Z6kernelI18striped_to_blockedN15benchmark_utils11custom_typeIffEELj256ELj8ELj100EEvPKT0_PKjPS4_.private_seg_size, 0
	.set _Z6kernelI18striped_to_blockedN15benchmark_utils11custom_typeIffEELj256ELj8ELj100EEvPKT0_PKjPS4_.uses_vcc, 0
	.set _Z6kernelI18striped_to_blockedN15benchmark_utils11custom_typeIffEELj256ELj8ELj100EEvPKT0_PKjPS4_.uses_flat_scratch, 0
	.set _Z6kernelI18striped_to_blockedN15benchmark_utils11custom_typeIffEELj256ELj8ELj100EEvPKT0_PKjPS4_.has_dyn_sized_stack, 0
	.set _Z6kernelI18striped_to_blockedN15benchmark_utils11custom_typeIffEELj256ELj8ELj100EEvPKT0_PKjPS4_.has_recursion, 0
	.set _Z6kernelI18striped_to_blockedN15benchmark_utils11custom_typeIffEELj256ELj8ELj100EEvPKT0_PKjPS4_.has_indirect_call, 0
	.section	.AMDGPU.csdata,"",@progbits
; Kernel info:
; codeLenInByte = 664
; TotalNumSgprs: 7
; NumVgprs: 27
; ScratchSize: 0
; MemoryBound: 0
; FloatMode: 240
; IeeeMode: 1
; LDSByteSize: 16896 bytes/workgroup (compile time only)
; SGPRBlocks: 0
; VGPRBlocks: 1
; NumSGPRsForWavesPerEU: 7
; NumVGPRsForWavesPerEU: 27
; NamedBarCnt: 0
; Occupancy: 16
; WaveLimiterHint : 1
; COMPUTE_PGM_RSRC2:SCRATCH_EN: 0
; COMPUTE_PGM_RSRC2:USER_SGPR: 2
; COMPUTE_PGM_RSRC2:TRAP_HANDLER: 0
; COMPUTE_PGM_RSRC2:TGID_X_EN: 1
; COMPUTE_PGM_RSRC2:TGID_Y_EN: 0
; COMPUTE_PGM_RSRC2:TGID_Z_EN: 0
; COMPUTE_PGM_RSRC2:TIDIG_COMP_CNT: 0
	.section	.text._Z6kernelI18striped_to_blockedN15benchmark_utils11custom_typeIddEELj256ELj1ELj100EEvPKT0_PKjPS4_,"axG",@progbits,_Z6kernelI18striped_to_blockedN15benchmark_utils11custom_typeIddEELj256ELj1ELj100EEvPKT0_PKjPS4_,comdat
	.protected	_Z6kernelI18striped_to_blockedN15benchmark_utils11custom_typeIddEELj256ELj1ELj100EEvPKT0_PKjPS4_ ; -- Begin function _Z6kernelI18striped_to_blockedN15benchmark_utils11custom_typeIddEELj256ELj1ELj100EEvPKT0_PKjPS4_
	.globl	_Z6kernelI18striped_to_blockedN15benchmark_utils11custom_typeIddEELj256ELj1ELj100EEvPKT0_PKjPS4_
	.p2align	8
	.type	_Z6kernelI18striped_to_blockedN15benchmark_utils11custom_typeIddEELj256ELj1ELj100EEvPKT0_PKjPS4_,@function
_Z6kernelI18striped_to_blockedN15benchmark_utils11custom_typeIddEELj256ELj1ELj100EEvPKT0_PKjPS4_: ; @_Z6kernelI18striped_to_blockedN15benchmark_utils11custom_typeIddEELj256ELj1ELj100EEvPKT0_PKjPS4_
; %bb.0:
	s_load_b64 s[4:5], s[0:1], 0x0
	s_bfe_u32 s2, ttmp6, 0x4000c
	s_and_b32 s3, ttmp6, 15
	s_add_co_i32 s2, s2, 1
	s_getreg_b32 s6, hwreg(HW_REG_IB_STS2, 6, 4)
	s_mul_i32 s2, ttmp9, s2
	v_lshlrev_b32_e32 v1, 4, v0
	s_add_co_i32 s3, s3, s2
	s_cmp_eq_u32 s6, 0
	s_cselect_b32 s2, ttmp9, s3
	s_mov_b32 s3, 0
	s_lshl_b32 s2, s2, 8
	s_delay_alu instid0(SALU_CYCLE_1)
	s_lshl_b64 s[2:3], s[2:3], 4
	s_wait_kmcnt 0x0
	s_add_nc_u64 s[4:5], s[4:5], s[2:3]
	global_load_b128 v[2:5], v0, s[4:5] scale_offset
	s_wait_xcnt 0x0
	s_movk_i32 s4, 0x64
.LBB54_1:                               ; =>This Inner Loop Header: Depth=1
	s_wait_loadcnt 0x0
	ds_store_b128 v1, v[2:5]
	s_wait_dscnt 0x0
	s_barrier_signal -1
	s_barrier_wait -1
	ds_load_b128 v[2:5], v1
	s_add_co_i32 s4, s4, -1
	s_wait_dscnt 0x0
	s_cmp_lg_u32 s4, 0
	s_barrier_signal -1
	s_barrier_wait -1
	s_cbranch_scc1 .LBB54_1
; %bb.2:
	s_load_b64 s[0:1], s[0:1], 0x10
	s_wait_kmcnt 0x0
	s_add_nc_u64 s[0:1], s[0:1], s[2:3]
	global_store_b128 v0, v[2:5], s[0:1] scale_offset
	s_endpgm
	.section	.rodata,"a",@progbits
	.p2align	6, 0x0
	.amdhsa_kernel _Z6kernelI18striped_to_blockedN15benchmark_utils11custom_typeIddEELj256ELj1ELj100EEvPKT0_PKjPS4_
		.amdhsa_group_segment_fixed_size 4096
		.amdhsa_private_segment_fixed_size 0
		.amdhsa_kernarg_size 24
		.amdhsa_user_sgpr_count 2
		.amdhsa_user_sgpr_dispatch_ptr 0
		.amdhsa_user_sgpr_queue_ptr 0
		.amdhsa_user_sgpr_kernarg_segment_ptr 1
		.amdhsa_user_sgpr_dispatch_id 0
		.amdhsa_user_sgpr_kernarg_preload_length 0
		.amdhsa_user_sgpr_kernarg_preload_offset 0
		.amdhsa_user_sgpr_private_segment_size 0
		.amdhsa_wavefront_size32 1
		.amdhsa_uses_dynamic_stack 0
		.amdhsa_enable_private_segment 0
		.amdhsa_system_sgpr_workgroup_id_x 1
		.amdhsa_system_sgpr_workgroup_id_y 0
		.amdhsa_system_sgpr_workgroup_id_z 0
		.amdhsa_system_sgpr_workgroup_info 0
		.amdhsa_system_vgpr_workitem_id 0
		.amdhsa_next_free_vgpr 6
		.amdhsa_next_free_sgpr 7
		.amdhsa_named_barrier_count 0
		.amdhsa_reserve_vcc 0
		.amdhsa_float_round_mode_32 0
		.amdhsa_float_round_mode_16_64 0
		.amdhsa_float_denorm_mode_32 3
		.amdhsa_float_denorm_mode_16_64 3
		.amdhsa_fp16_overflow 0
		.amdhsa_memory_ordered 1
		.amdhsa_forward_progress 1
		.amdhsa_inst_pref_size 2
		.amdhsa_round_robin_scheduling 0
		.amdhsa_exception_fp_ieee_invalid_op 0
		.amdhsa_exception_fp_denorm_src 0
		.amdhsa_exception_fp_ieee_div_zero 0
		.amdhsa_exception_fp_ieee_overflow 0
		.amdhsa_exception_fp_ieee_underflow 0
		.amdhsa_exception_fp_ieee_inexact 0
		.amdhsa_exception_int_div_zero 0
	.end_amdhsa_kernel
	.section	.text._Z6kernelI18striped_to_blockedN15benchmark_utils11custom_typeIddEELj256ELj1ELj100EEvPKT0_PKjPS4_,"axG",@progbits,_Z6kernelI18striped_to_blockedN15benchmark_utils11custom_typeIddEELj256ELj1ELj100EEvPKT0_PKjPS4_,comdat
.Lfunc_end54:
	.size	_Z6kernelI18striped_to_blockedN15benchmark_utils11custom_typeIddEELj256ELj1ELj100EEvPKT0_PKjPS4_, .Lfunc_end54-_Z6kernelI18striped_to_blockedN15benchmark_utils11custom_typeIddEELj256ELj1ELj100EEvPKT0_PKjPS4_
                                        ; -- End function
	.set _Z6kernelI18striped_to_blockedN15benchmark_utils11custom_typeIddEELj256ELj1ELj100EEvPKT0_PKjPS4_.num_vgpr, 6
	.set _Z6kernelI18striped_to_blockedN15benchmark_utils11custom_typeIddEELj256ELj1ELj100EEvPKT0_PKjPS4_.num_agpr, 0
	.set _Z6kernelI18striped_to_blockedN15benchmark_utils11custom_typeIddEELj256ELj1ELj100EEvPKT0_PKjPS4_.numbered_sgpr, 7
	.set _Z6kernelI18striped_to_blockedN15benchmark_utils11custom_typeIddEELj256ELj1ELj100EEvPKT0_PKjPS4_.num_named_barrier, 0
	.set _Z6kernelI18striped_to_blockedN15benchmark_utils11custom_typeIddEELj256ELj1ELj100EEvPKT0_PKjPS4_.private_seg_size, 0
	.set _Z6kernelI18striped_to_blockedN15benchmark_utils11custom_typeIddEELj256ELj1ELj100EEvPKT0_PKjPS4_.uses_vcc, 0
	.set _Z6kernelI18striped_to_blockedN15benchmark_utils11custom_typeIddEELj256ELj1ELj100EEvPKT0_PKjPS4_.uses_flat_scratch, 0
	.set _Z6kernelI18striped_to_blockedN15benchmark_utils11custom_typeIddEELj256ELj1ELj100EEvPKT0_PKjPS4_.has_dyn_sized_stack, 0
	.set _Z6kernelI18striped_to_blockedN15benchmark_utils11custom_typeIddEELj256ELj1ELj100EEvPKT0_PKjPS4_.has_recursion, 0
	.set _Z6kernelI18striped_to_blockedN15benchmark_utils11custom_typeIddEELj256ELj1ELj100EEvPKT0_PKjPS4_.has_indirect_call, 0
	.section	.AMDGPU.csdata,"",@progbits
; Kernel info:
; codeLenInByte = 180
; TotalNumSgprs: 7
; NumVgprs: 6
; ScratchSize: 0
; MemoryBound: 0
; FloatMode: 240
; IeeeMode: 1
; LDSByteSize: 4096 bytes/workgroup (compile time only)
; SGPRBlocks: 0
; VGPRBlocks: 0
; NumSGPRsForWavesPerEU: 7
; NumVGPRsForWavesPerEU: 6
; NamedBarCnt: 0
; Occupancy: 16
; WaveLimiterHint : 0
; COMPUTE_PGM_RSRC2:SCRATCH_EN: 0
; COMPUTE_PGM_RSRC2:USER_SGPR: 2
; COMPUTE_PGM_RSRC2:TRAP_HANDLER: 0
; COMPUTE_PGM_RSRC2:TGID_X_EN: 1
; COMPUTE_PGM_RSRC2:TGID_Y_EN: 0
; COMPUTE_PGM_RSRC2:TGID_Z_EN: 0
; COMPUTE_PGM_RSRC2:TIDIG_COMP_CNT: 0
	.section	.text._Z6kernelI18striped_to_blockedN15benchmark_utils11custom_typeIddEELj256ELj2ELj100EEvPKT0_PKjPS4_,"axG",@progbits,_Z6kernelI18striped_to_blockedN15benchmark_utils11custom_typeIddEELj256ELj2ELj100EEvPKT0_PKjPS4_,comdat
	.protected	_Z6kernelI18striped_to_blockedN15benchmark_utils11custom_typeIddEELj256ELj2ELj100EEvPKT0_PKjPS4_ ; -- Begin function _Z6kernelI18striped_to_blockedN15benchmark_utils11custom_typeIddEELj256ELj2ELj100EEvPKT0_PKjPS4_
	.globl	_Z6kernelI18striped_to_blockedN15benchmark_utils11custom_typeIddEELj256ELj2ELj100EEvPKT0_PKjPS4_
	.p2align	8
	.type	_Z6kernelI18striped_to_blockedN15benchmark_utils11custom_typeIddEELj256ELj2ELj100EEvPKT0_PKjPS4_,@function
_Z6kernelI18striped_to_blockedN15benchmark_utils11custom_typeIddEELj256ELj2ELj100EEvPKT0_PKjPS4_: ; @_Z6kernelI18striped_to_blockedN15benchmark_utils11custom_typeIddEELj256ELj2ELj100EEvPKT0_PKjPS4_
; %bb.0:
	s_load_b64 s[4:5], s[0:1], 0x0
	s_bfe_u32 s2, ttmp6, 0x4000c
	s_and_b32 s3, ttmp6, 15
	s_add_co_i32 s2, s2, 1
	s_getreg_b32 s6, hwreg(HW_REG_IB_STS2, 6, 4)
	s_mul_i32 s2, ttmp9, s2
	v_or_b32_e32 v1, 0x100, v0
	s_add_co_i32 s3, s3, s2
	s_cmp_eq_u32 s6, 0
	v_lshrrev_b32_e32 v10, 1, v0
	s_cselect_b32 s2, ttmp9, s3
	s_mov_b32 s3, 0
	s_lshl_b32 s2, s2, 9
	v_lshrrev_b32_e32 v1, 1, v1
	s_lshl_b64 s[2:3], s[2:3], 4
	v_and_b32_e32 v10, 0x70, v10
	v_lshlrev_b32_e32 v11, 4, v0
	v_and_b32_e32 v12, 0xf0, v0
	v_and_b32_e32 v1, 0xf0, v1
	s_wait_kmcnt 0x0
	s_add_nc_u64 s[4:5], s[4:5], s[2:3]
	v_add_nc_u32_e32 v10, v10, v11
	s_clause 0x1
	global_load_b128 v[6:9], v0, s[4:5] scale_offset
	global_load_b128 v[2:5], v0, s[4:5] offset:4096 scale_offset
	v_dual_add_nc_u32 v11, v1, v11 :: v_dual_lshlrev_b32 v1, 1, v0
	s_wait_xcnt 0x0
	v_lshl_add_u32 v0, v0, 5, v12
	s_movk_i32 s4, 0x64
.LBB55_1:                               ; =>This Inner Loop Header: Depth=1
	s_wait_loadcnt 0x1
	ds_store_b128 v10, v[6:9]
	s_wait_loadcnt 0x0
	ds_store_b128 v11, v[2:5] offset:4096
	s_wait_dscnt 0x0
	s_barrier_signal -1
	s_barrier_wait -1
	ds_load_b128 v[6:9], v0
	ds_load_b128 v[2:5], v0 offset:16
	s_add_co_i32 s4, s4, -1
	s_wait_dscnt 0x0
	s_cmp_lg_u32 s4, 0
	s_barrier_signal -1
	s_barrier_wait -1
	s_cbranch_scc1 .LBB55_1
; %bb.2:
	s_load_b64 s[0:1], s[0:1], 0x10
	s_wait_kmcnt 0x0
	s_add_nc_u64 s[0:1], s[0:1], s[2:3]
	s_clause 0x1
	global_store_b128 v1, v[6:9], s[0:1] scale_offset
	global_store_b128 v1, v[2:5], s[0:1] offset:16 scale_offset
	s_endpgm
	.section	.rodata,"a",@progbits
	.p2align	6, 0x0
	.amdhsa_kernel _Z6kernelI18striped_to_blockedN15benchmark_utils11custom_typeIddEELj256ELj2ELj100EEvPKT0_PKjPS4_
		.amdhsa_group_segment_fixed_size 8448
		.amdhsa_private_segment_fixed_size 0
		.amdhsa_kernarg_size 24
		.amdhsa_user_sgpr_count 2
		.amdhsa_user_sgpr_dispatch_ptr 0
		.amdhsa_user_sgpr_queue_ptr 0
		.amdhsa_user_sgpr_kernarg_segment_ptr 1
		.amdhsa_user_sgpr_dispatch_id 0
		.amdhsa_user_sgpr_kernarg_preload_length 0
		.amdhsa_user_sgpr_kernarg_preload_offset 0
		.amdhsa_user_sgpr_private_segment_size 0
		.amdhsa_wavefront_size32 1
		.amdhsa_uses_dynamic_stack 0
		.amdhsa_enable_private_segment 0
		.amdhsa_system_sgpr_workgroup_id_x 1
		.amdhsa_system_sgpr_workgroup_id_y 0
		.amdhsa_system_sgpr_workgroup_id_z 0
		.amdhsa_system_sgpr_workgroup_info 0
		.amdhsa_system_vgpr_workitem_id 0
		.amdhsa_next_free_vgpr 13
		.amdhsa_next_free_sgpr 7
		.amdhsa_named_barrier_count 0
		.amdhsa_reserve_vcc 0
		.amdhsa_float_round_mode_32 0
		.amdhsa_float_round_mode_16_64 0
		.amdhsa_float_denorm_mode_32 3
		.amdhsa_float_denorm_mode_16_64 3
		.amdhsa_fp16_overflow 0
		.amdhsa_memory_ordered 1
		.amdhsa_forward_progress 1
		.amdhsa_inst_pref_size 3
		.amdhsa_round_robin_scheduling 0
		.amdhsa_exception_fp_ieee_invalid_op 0
		.amdhsa_exception_fp_denorm_src 0
		.amdhsa_exception_fp_ieee_div_zero 0
		.amdhsa_exception_fp_ieee_overflow 0
		.amdhsa_exception_fp_ieee_underflow 0
		.amdhsa_exception_fp_ieee_inexact 0
		.amdhsa_exception_int_div_zero 0
	.end_amdhsa_kernel
	.section	.text._Z6kernelI18striped_to_blockedN15benchmark_utils11custom_typeIddEELj256ELj2ELj100EEvPKT0_PKjPS4_,"axG",@progbits,_Z6kernelI18striped_to_blockedN15benchmark_utils11custom_typeIddEELj256ELj2ELj100EEvPKT0_PKjPS4_,comdat
.Lfunc_end55:
	.size	_Z6kernelI18striped_to_blockedN15benchmark_utils11custom_typeIddEELj256ELj2ELj100EEvPKT0_PKjPS4_, .Lfunc_end55-_Z6kernelI18striped_to_blockedN15benchmark_utils11custom_typeIddEELj256ELj2ELj100EEvPKT0_PKjPS4_
                                        ; -- End function
	.set _Z6kernelI18striped_to_blockedN15benchmark_utils11custom_typeIddEELj256ELj2ELj100EEvPKT0_PKjPS4_.num_vgpr, 13
	.set _Z6kernelI18striped_to_blockedN15benchmark_utils11custom_typeIddEELj256ELj2ELj100EEvPKT0_PKjPS4_.num_agpr, 0
	.set _Z6kernelI18striped_to_blockedN15benchmark_utils11custom_typeIddEELj256ELj2ELj100EEvPKT0_PKjPS4_.numbered_sgpr, 7
	.set _Z6kernelI18striped_to_blockedN15benchmark_utils11custom_typeIddEELj256ELj2ELj100EEvPKT0_PKjPS4_.num_named_barrier, 0
	.set _Z6kernelI18striped_to_blockedN15benchmark_utils11custom_typeIddEELj256ELj2ELj100EEvPKT0_PKjPS4_.private_seg_size, 0
	.set _Z6kernelI18striped_to_blockedN15benchmark_utils11custom_typeIddEELj256ELj2ELj100EEvPKT0_PKjPS4_.uses_vcc, 0
	.set _Z6kernelI18striped_to_blockedN15benchmark_utils11custom_typeIddEELj256ELj2ELj100EEvPKT0_PKjPS4_.uses_flat_scratch, 0
	.set _Z6kernelI18striped_to_blockedN15benchmark_utils11custom_typeIddEELj256ELj2ELj100EEvPKT0_PKjPS4_.has_dyn_sized_stack, 0
	.set _Z6kernelI18striped_to_blockedN15benchmark_utils11custom_typeIddEELj256ELj2ELj100EEvPKT0_PKjPS4_.has_recursion, 0
	.set _Z6kernelI18striped_to_blockedN15benchmark_utils11custom_typeIddEELj256ELj2ELj100EEvPKT0_PKjPS4_.has_indirect_call, 0
	.section	.AMDGPU.csdata,"",@progbits
; Kernel info:
; codeLenInByte = 292
; TotalNumSgprs: 7
; NumVgprs: 13
; ScratchSize: 0
; MemoryBound: 0
; FloatMode: 240
; IeeeMode: 1
; LDSByteSize: 8448 bytes/workgroup (compile time only)
; SGPRBlocks: 0
; VGPRBlocks: 0
; NumSGPRsForWavesPerEU: 7
; NumVGPRsForWavesPerEU: 13
; NamedBarCnt: 0
; Occupancy: 16
; WaveLimiterHint : 1
; COMPUTE_PGM_RSRC2:SCRATCH_EN: 0
; COMPUTE_PGM_RSRC2:USER_SGPR: 2
; COMPUTE_PGM_RSRC2:TRAP_HANDLER: 0
; COMPUTE_PGM_RSRC2:TGID_X_EN: 1
; COMPUTE_PGM_RSRC2:TGID_Y_EN: 0
; COMPUTE_PGM_RSRC2:TGID_Z_EN: 0
; COMPUTE_PGM_RSRC2:TIDIG_COMP_CNT: 0
	.section	.text._Z6kernelI18striped_to_blockedN15benchmark_utils11custom_typeIddEELj256ELj3ELj100EEvPKT0_PKjPS4_,"axG",@progbits,_Z6kernelI18striped_to_blockedN15benchmark_utils11custom_typeIddEELj256ELj3ELj100EEvPKT0_PKjPS4_,comdat
	.protected	_Z6kernelI18striped_to_blockedN15benchmark_utils11custom_typeIddEELj256ELj3ELj100EEvPKT0_PKjPS4_ ; -- Begin function _Z6kernelI18striped_to_blockedN15benchmark_utils11custom_typeIddEELj256ELj3ELj100EEvPKT0_PKjPS4_
	.globl	_Z6kernelI18striped_to_blockedN15benchmark_utils11custom_typeIddEELj256ELj3ELj100EEvPKT0_PKjPS4_
	.p2align	8
	.type	_Z6kernelI18striped_to_blockedN15benchmark_utils11custom_typeIddEELj256ELj3ELj100EEvPKT0_PKjPS4_,@function
_Z6kernelI18striped_to_blockedN15benchmark_utils11custom_typeIddEELj256ELj3ELj100EEvPKT0_PKjPS4_: ; @_Z6kernelI18striped_to_blockedN15benchmark_utils11custom_typeIddEELj256ELj3ELj100EEvPKT0_PKjPS4_
; %bb.0:
	s_load_b64 s[4:5], s[0:1], 0x0
	s_bfe_u32 s2, ttmp6, 0x4000c
	s_and_b32 s3, ttmp6, 15
	s_add_co_i32 s2, s2, 1
	s_getreg_b32 s6, hwreg(HW_REG_IB_STS2, 6, 4)
	s_mul_i32 s2, ttmp9, s2
	v_dual_lshlrev_b32 v1, 4, v0 :: v_dual_lshlrev_b32 v14, 5, v0
	s_add_co_i32 s3, s3, s2
	s_cmp_eq_u32 s6, 0
	s_cselect_b32 s2, ttmp9, s3
	s_mov_b32 s3, 0
	s_mulk_i32 s2, 0x300
	v_add_nc_u32_e32 v14, v1, v14
	s_lshl_b64 s[2:3], s[2:3], 4
	s_wait_kmcnt 0x0
	s_add_nc_u64 s[4:5], s[4:5], s[2:3]
	s_clause 0x2
	global_load_b128 v[10:13], v0, s[4:5] scale_offset
	global_load_b128 v[6:9], v0, s[4:5] offset:4096 scale_offset
	global_load_b128 v[2:5], v0, s[4:5] offset:8192 scale_offset
	s_wait_xcnt 0x0
	s_movk_i32 s4, 0x64
.LBB56_1:                               ; =>This Inner Loop Header: Depth=1
	s_wait_loadcnt 0x2
	ds_store_b128 v1, v[10:13]
	s_wait_loadcnt 0x1
	ds_store_b128 v1, v[6:9] offset:4096
	s_wait_loadcnt 0x0
	ds_store_b128 v1, v[2:5] offset:8192
	s_wait_dscnt 0x0
	s_barrier_signal -1
	s_barrier_wait -1
	ds_load_b128 v[10:13], v14
	ds_load_b128 v[6:9], v14 offset:16
	ds_load_b128 v[2:5], v14 offset:32
	s_add_co_i32 s4, s4, -1
	s_wait_dscnt 0x0
	s_cmp_lg_u32 s4, 0
	s_barrier_signal -1
	s_barrier_wait -1
	s_cbranch_scc1 .LBB56_1
; %bb.2:
	s_load_b64 s[0:1], s[0:1], 0x10
	v_mul_u32_u24_e32 v0, 3, v0
	s_wait_kmcnt 0x0
	s_add_nc_u64 s[0:1], s[0:1], s[2:3]
	s_clause 0x2
	global_store_b128 v0, v[10:13], s[0:1] scale_offset
	global_store_b128 v0, v[6:9], s[0:1] offset:16 scale_offset
	global_store_b128 v0, v[2:5], s[0:1] offset:32 scale_offset
	s_endpgm
	.section	.rodata,"a",@progbits
	.p2align	6, 0x0
	.amdhsa_kernel _Z6kernelI18striped_to_blockedN15benchmark_utils11custom_typeIddEELj256ELj3ELj100EEvPKT0_PKjPS4_
		.amdhsa_group_segment_fixed_size 12288
		.amdhsa_private_segment_fixed_size 0
		.amdhsa_kernarg_size 24
		.amdhsa_user_sgpr_count 2
		.amdhsa_user_sgpr_dispatch_ptr 0
		.amdhsa_user_sgpr_queue_ptr 0
		.amdhsa_user_sgpr_kernarg_segment_ptr 1
		.amdhsa_user_sgpr_dispatch_id 0
		.amdhsa_user_sgpr_kernarg_preload_length 0
		.amdhsa_user_sgpr_kernarg_preload_offset 0
		.amdhsa_user_sgpr_private_segment_size 0
		.amdhsa_wavefront_size32 1
		.amdhsa_uses_dynamic_stack 0
		.amdhsa_enable_private_segment 0
		.amdhsa_system_sgpr_workgroup_id_x 1
		.amdhsa_system_sgpr_workgroup_id_y 0
		.amdhsa_system_sgpr_workgroup_id_z 0
		.amdhsa_system_sgpr_workgroup_info 0
		.amdhsa_system_vgpr_workitem_id 0
		.amdhsa_next_free_vgpr 15
		.amdhsa_next_free_sgpr 7
		.amdhsa_named_barrier_count 0
		.amdhsa_reserve_vcc 0
		.amdhsa_float_round_mode_32 0
		.amdhsa_float_round_mode_16_64 0
		.amdhsa_float_denorm_mode_32 3
		.amdhsa_float_denorm_mode_16_64 3
		.amdhsa_fp16_overflow 0
		.amdhsa_memory_ordered 1
		.amdhsa_forward_progress 1
		.amdhsa_inst_pref_size 3
		.amdhsa_round_robin_scheduling 0
		.amdhsa_exception_fp_ieee_invalid_op 0
		.amdhsa_exception_fp_denorm_src 0
		.amdhsa_exception_fp_ieee_div_zero 0
		.amdhsa_exception_fp_ieee_overflow 0
		.amdhsa_exception_fp_ieee_underflow 0
		.amdhsa_exception_fp_ieee_inexact 0
		.amdhsa_exception_int_div_zero 0
	.end_amdhsa_kernel
	.section	.text._Z6kernelI18striped_to_blockedN15benchmark_utils11custom_typeIddEELj256ELj3ELj100EEvPKT0_PKjPS4_,"axG",@progbits,_Z6kernelI18striped_to_blockedN15benchmark_utils11custom_typeIddEELj256ELj3ELj100EEvPKT0_PKjPS4_,comdat
.Lfunc_end56:
	.size	_Z6kernelI18striped_to_blockedN15benchmark_utils11custom_typeIddEELj256ELj3ELj100EEvPKT0_PKjPS4_, .Lfunc_end56-_Z6kernelI18striped_to_blockedN15benchmark_utils11custom_typeIddEELj256ELj3ELj100EEvPKT0_PKjPS4_
                                        ; -- End function
	.set _Z6kernelI18striped_to_blockedN15benchmark_utils11custom_typeIddEELj256ELj3ELj100EEvPKT0_PKjPS4_.num_vgpr, 15
	.set _Z6kernelI18striped_to_blockedN15benchmark_utils11custom_typeIddEELj256ELj3ELj100EEvPKT0_PKjPS4_.num_agpr, 0
	.set _Z6kernelI18striped_to_blockedN15benchmark_utils11custom_typeIddEELj256ELj3ELj100EEvPKT0_PKjPS4_.numbered_sgpr, 7
	.set _Z6kernelI18striped_to_blockedN15benchmark_utils11custom_typeIddEELj256ELj3ELj100EEvPKT0_PKjPS4_.num_named_barrier, 0
	.set _Z6kernelI18striped_to_blockedN15benchmark_utils11custom_typeIddEELj256ELj3ELj100EEvPKT0_PKjPS4_.private_seg_size, 0
	.set _Z6kernelI18striped_to_blockedN15benchmark_utils11custom_typeIddEELj256ELj3ELj100EEvPKT0_PKjPS4_.uses_vcc, 0
	.set _Z6kernelI18striped_to_blockedN15benchmark_utils11custom_typeIddEELj256ELj3ELj100EEvPKT0_PKjPS4_.uses_flat_scratch, 0
	.set _Z6kernelI18striped_to_blockedN15benchmark_utils11custom_typeIddEELj256ELj3ELj100EEvPKT0_PKjPS4_.has_dyn_sized_stack, 0
	.set _Z6kernelI18striped_to_blockedN15benchmark_utils11custom_typeIddEELj256ELj3ELj100EEvPKT0_PKjPS4_.has_recursion, 0
	.set _Z6kernelI18striped_to_blockedN15benchmark_utils11custom_typeIddEELj256ELj3ELj100EEvPKT0_PKjPS4_.has_indirect_call, 0
	.section	.AMDGPU.csdata,"",@progbits
; Kernel info:
; codeLenInByte = 288
; TotalNumSgprs: 7
; NumVgprs: 15
; ScratchSize: 0
; MemoryBound: 0
; FloatMode: 240
; IeeeMode: 1
; LDSByteSize: 12288 bytes/workgroup (compile time only)
; SGPRBlocks: 0
; VGPRBlocks: 0
; NumSGPRsForWavesPerEU: 7
; NumVGPRsForWavesPerEU: 15
; NamedBarCnt: 0
; Occupancy: 16
; WaveLimiterHint : 1
; COMPUTE_PGM_RSRC2:SCRATCH_EN: 0
; COMPUTE_PGM_RSRC2:USER_SGPR: 2
; COMPUTE_PGM_RSRC2:TRAP_HANDLER: 0
; COMPUTE_PGM_RSRC2:TGID_X_EN: 1
; COMPUTE_PGM_RSRC2:TGID_Y_EN: 0
; COMPUTE_PGM_RSRC2:TGID_Z_EN: 0
; COMPUTE_PGM_RSRC2:TIDIG_COMP_CNT: 0
	.section	.text._Z6kernelI18striped_to_blockedN15benchmark_utils11custom_typeIddEELj256ELj4ELj100EEvPKT0_PKjPS4_,"axG",@progbits,_Z6kernelI18striped_to_blockedN15benchmark_utils11custom_typeIddEELj256ELj4ELj100EEvPKT0_PKjPS4_,comdat
	.protected	_Z6kernelI18striped_to_blockedN15benchmark_utils11custom_typeIddEELj256ELj4ELj100EEvPKT0_PKjPS4_ ; -- Begin function _Z6kernelI18striped_to_blockedN15benchmark_utils11custom_typeIddEELj256ELj4ELj100EEvPKT0_PKjPS4_
	.globl	_Z6kernelI18striped_to_blockedN15benchmark_utils11custom_typeIddEELj256ELj4ELj100EEvPKT0_PKjPS4_
	.p2align	8
	.type	_Z6kernelI18striped_to_blockedN15benchmark_utils11custom_typeIddEELj256ELj4ELj100EEvPKT0_PKjPS4_,@function
_Z6kernelI18striped_to_blockedN15benchmark_utils11custom_typeIddEELj256ELj4ELj100EEvPKT0_PKjPS4_: ; @_Z6kernelI18striped_to_blockedN15benchmark_utils11custom_typeIddEELj256ELj4ELj100EEvPKT0_PKjPS4_
; %bb.0:
	s_load_b64 s[4:5], s[0:1], 0x0
	s_bfe_u32 s2, ttmp6, 0x4000c
	s_and_b32 s3, ttmp6, 15
	s_add_co_i32 s2, s2, 1
	s_getreg_b32 s6, hwreg(HW_REG_IB_STS2, 6, 4)
	s_mul_i32 s2, ttmp9, s2
	v_or_b32_e32 v18, 0x100, v0
	s_add_co_i32 s3, s3, s2
	s_cmp_eq_u32 s6, 0
	v_or_b32_e32 v19, 0x200, v0
	s_cselect_b32 s2, ttmp9, s3
	s_mov_b32 s3, 0
	s_lshl_b32 s2, s2, 10
	v_or_b32_e32 v20, 0x300, v0
	s_lshl_b64 s[2:3], s[2:3], 4
	v_dual_lshrrev_b32 v1, 1, v0 :: v_dual_lshrrev_b32 v18, 1, v18
	s_delay_alu instid0(VALU_DEP_2)
	v_dual_lshrrev_b32 v19, 1, v19 :: v_dual_lshrrev_b32 v20, 1, v20
	v_dual_lshlrev_b32 v21, 4, v0 :: v_dual_lshlrev_b32 v22, 1, v0
	s_wait_kmcnt 0x0
	s_add_nc_u64 s[4:5], s[4:5], s[2:3]
	s_clause 0x3
	global_load_b128 v[14:17], v0, s[4:5] scale_offset
	global_load_b128 v[10:13], v0, s[4:5] offset:4096 scale_offset
	global_load_b128 v[6:9], v0, s[4:5] offset:8192 scale_offset
	;; [unrolled: 1-line block ×3, first 2 shown]
	v_and_b32_e32 v1, 0x70, v1
	v_and_b32_e32 v23, 0xf0, v18
	;; [unrolled: 1-line block ×5, first 2 shown]
	s_delay_alu instid0(VALU_DEP_4) | instskip(NEXT) | instid1(VALU_DEP_3)
	v_dual_add_nc_u32 v18, v1, v21 :: v_dual_add_nc_u32 v19, v23, v21
	v_dual_add_nc_u32 v20, v24, v21 :: v_dual_add_nc_u32 v21, v25, v21
	v_lshlrev_b32_e32 v1, 2, v0
	s_wait_xcnt 0x0
	v_lshl_add_u32 v0, v0, 6, v22
	s_movk_i32 s4, 0x64
.LBB57_1:                               ; =>This Inner Loop Header: Depth=1
	s_wait_loadcnt 0x3
	ds_store_b128 v18, v[14:17]
	s_wait_loadcnt 0x2
	ds_store_b128 v19, v[10:13] offset:4096
	s_wait_loadcnt 0x1
	ds_store_b128 v20, v[6:9] offset:8192
	;; [unrolled: 2-line block ×3, first 2 shown]
	s_wait_dscnt 0x0
	s_barrier_signal -1
	s_barrier_wait -1
	ds_load_b128 v[14:17], v0
	ds_load_b128 v[10:13], v0 offset:16
	ds_load_b128 v[6:9], v0 offset:32
	;; [unrolled: 1-line block ×3, first 2 shown]
	s_add_co_i32 s4, s4, -1
	s_wait_dscnt 0x0
	s_cmp_lg_u32 s4, 0
	s_barrier_signal -1
	s_barrier_wait -1
	s_cbranch_scc1 .LBB57_1
; %bb.2:
	s_load_b64 s[0:1], s[0:1], 0x10
	s_wait_kmcnt 0x0
	s_add_nc_u64 s[0:1], s[0:1], s[2:3]
	s_clause 0x3
	global_store_b128 v1, v[14:17], s[0:1] scale_offset
	global_store_b128 v1, v[10:13], s[0:1] offset:16 scale_offset
	global_store_b128 v1, v[6:9], s[0:1] offset:32 scale_offset
	;; [unrolled: 1-line block ×3, first 2 shown]
	s_endpgm
	.section	.rodata,"a",@progbits
	.p2align	6, 0x0
	.amdhsa_kernel _Z6kernelI18striped_to_blockedN15benchmark_utils11custom_typeIddEELj256ELj4ELj100EEvPKT0_PKjPS4_
		.amdhsa_group_segment_fixed_size 16896
		.amdhsa_private_segment_fixed_size 0
		.amdhsa_kernarg_size 24
		.amdhsa_user_sgpr_count 2
		.amdhsa_user_sgpr_dispatch_ptr 0
		.amdhsa_user_sgpr_queue_ptr 0
		.amdhsa_user_sgpr_kernarg_segment_ptr 1
		.amdhsa_user_sgpr_dispatch_id 0
		.amdhsa_user_sgpr_kernarg_preload_length 0
		.amdhsa_user_sgpr_kernarg_preload_offset 0
		.amdhsa_user_sgpr_private_segment_size 0
		.amdhsa_wavefront_size32 1
		.amdhsa_uses_dynamic_stack 0
		.amdhsa_enable_private_segment 0
		.amdhsa_system_sgpr_workgroup_id_x 1
		.amdhsa_system_sgpr_workgroup_id_y 0
		.amdhsa_system_sgpr_workgroup_id_z 0
		.amdhsa_system_sgpr_workgroup_info 0
		.amdhsa_system_vgpr_workitem_id 0
		.amdhsa_next_free_vgpr 26
		.amdhsa_next_free_sgpr 7
		.amdhsa_named_barrier_count 0
		.amdhsa_reserve_vcc 0
		.amdhsa_float_round_mode_32 0
		.amdhsa_float_round_mode_16_64 0
		.amdhsa_float_denorm_mode_32 3
		.amdhsa_float_denorm_mode_16_64 3
		.amdhsa_fp16_overflow 0
		.amdhsa_memory_ordered 1
		.amdhsa_forward_progress 1
		.amdhsa_inst_pref_size 4
		.amdhsa_round_robin_scheduling 0
		.amdhsa_exception_fp_ieee_invalid_op 0
		.amdhsa_exception_fp_denorm_src 0
		.amdhsa_exception_fp_ieee_div_zero 0
		.amdhsa_exception_fp_ieee_overflow 0
		.amdhsa_exception_fp_ieee_underflow 0
		.amdhsa_exception_fp_ieee_inexact 0
		.amdhsa_exception_int_div_zero 0
	.end_amdhsa_kernel
	.section	.text._Z6kernelI18striped_to_blockedN15benchmark_utils11custom_typeIddEELj256ELj4ELj100EEvPKT0_PKjPS4_,"axG",@progbits,_Z6kernelI18striped_to_blockedN15benchmark_utils11custom_typeIddEELj256ELj4ELj100EEvPKT0_PKjPS4_,comdat
.Lfunc_end57:
	.size	_Z6kernelI18striped_to_blockedN15benchmark_utils11custom_typeIddEELj256ELj4ELj100EEvPKT0_PKjPS4_, .Lfunc_end57-_Z6kernelI18striped_to_blockedN15benchmark_utils11custom_typeIddEELj256ELj4ELj100EEvPKT0_PKjPS4_
                                        ; -- End function
	.set _Z6kernelI18striped_to_blockedN15benchmark_utils11custom_typeIddEELj256ELj4ELj100EEvPKT0_PKjPS4_.num_vgpr, 26
	.set _Z6kernelI18striped_to_blockedN15benchmark_utils11custom_typeIddEELj256ELj4ELj100EEvPKT0_PKjPS4_.num_agpr, 0
	.set _Z6kernelI18striped_to_blockedN15benchmark_utils11custom_typeIddEELj256ELj4ELj100EEvPKT0_PKjPS4_.numbered_sgpr, 7
	.set _Z6kernelI18striped_to_blockedN15benchmark_utils11custom_typeIddEELj256ELj4ELj100EEvPKT0_PKjPS4_.num_named_barrier, 0
	.set _Z6kernelI18striped_to_blockedN15benchmark_utils11custom_typeIddEELj256ELj4ELj100EEvPKT0_PKjPS4_.private_seg_size, 0
	.set _Z6kernelI18striped_to_blockedN15benchmark_utils11custom_typeIddEELj256ELj4ELj100EEvPKT0_PKjPS4_.uses_vcc, 0
	.set _Z6kernelI18striped_to_blockedN15benchmark_utils11custom_typeIddEELj256ELj4ELj100EEvPKT0_PKjPS4_.uses_flat_scratch, 0
	.set _Z6kernelI18striped_to_blockedN15benchmark_utils11custom_typeIddEELj256ELj4ELj100EEvPKT0_PKjPS4_.has_dyn_sized_stack, 0
	.set _Z6kernelI18striped_to_blockedN15benchmark_utils11custom_typeIddEELj256ELj4ELj100EEvPKT0_PKjPS4_.has_recursion, 0
	.set _Z6kernelI18striped_to_blockedN15benchmark_utils11custom_typeIddEELj256ELj4ELj100EEvPKT0_PKjPS4_.has_indirect_call, 0
	.section	.AMDGPU.csdata,"",@progbits
; Kernel info:
; codeLenInByte = 456
; TotalNumSgprs: 7
; NumVgprs: 26
; ScratchSize: 0
; MemoryBound: 0
; FloatMode: 240
; IeeeMode: 1
; LDSByteSize: 16896 bytes/workgroup (compile time only)
; SGPRBlocks: 0
; VGPRBlocks: 1
; NumSGPRsForWavesPerEU: 7
; NumVGPRsForWavesPerEU: 26
; NamedBarCnt: 0
; Occupancy: 16
; WaveLimiterHint : 1
; COMPUTE_PGM_RSRC2:SCRATCH_EN: 0
; COMPUTE_PGM_RSRC2:USER_SGPR: 2
; COMPUTE_PGM_RSRC2:TRAP_HANDLER: 0
; COMPUTE_PGM_RSRC2:TGID_X_EN: 1
; COMPUTE_PGM_RSRC2:TGID_Y_EN: 0
; COMPUTE_PGM_RSRC2:TGID_Z_EN: 0
; COMPUTE_PGM_RSRC2:TIDIG_COMP_CNT: 0
	.section	.text._Z6kernelI18striped_to_blockedN15benchmark_utils11custom_typeIddEELj256ELj7ELj100EEvPKT0_PKjPS4_,"axG",@progbits,_Z6kernelI18striped_to_blockedN15benchmark_utils11custom_typeIddEELj256ELj7ELj100EEvPKT0_PKjPS4_,comdat
	.protected	_Z6kernelI18striped_to_blockedN15benchmark_utils11custom_typeIddEELj256ELj7ELj100EEvPKT0_PKjPS4_ ; -- Begin function _Z6kernelI18striped_to_blockedN15benchmark_utils11custom_typeIddEELj256ELj7ELj100EEvPKT0_PKjPS4_
	.globl	_Z6kernelI18striped_to_blockedN15benchmark_utils11custom_typeIddEELj256ELj7ELj100EEvPKT0_PKjPS4_
	.p2align	8
	.type	_Z6kernelI18striped_to_blockedN15benchmark_utils11custom_typeIddEELj256ELj7ELj100EEvPKT0_PKjPS4_,@function
_Z6kernelI18striped_to_blockedN15benchmark_utils11custom_typeIddEELj256ELj7ELj100EEvPKT0_PKjPS4_: ; @_Z6kernelI18striped_to_blockedN15benchmark_utils11custom_typeIddEELj256ELj7ELj100EEvPKT0_PKjPS4_
; %bb.0:
	s_load_b64 s[4:5], s[0:1], 0x0
	s_bfe_u32 s2, ttmp6, 0x4000c
	s_and_b32 s3, ttmp6, 15
	s_add_co_i32 s2, s2, 1
	s_getreg_b32 s6, hwreg(HW_REG_IB_STS2, 6, 4)
	s_mul_i32 s2, ttmp9, s2
	v_lshlrev_b32_e32 v1, 4, v0
	s_add_co_i32 s3, s3, s2
	s_cmp_eq_u32 s6, 0
	v_mul_u32_u24_e32 v30, 0x60, v0
	s_cselect_b32 s2, ttmp9, s3
	s_mov_b32 s3, 0
	s_mulk_i32 s2, 0x700
	s_delay_alu instid0(SALU_CYCLE_1)
	s_lshl_b64 s[2:3], s[2:3], 4
	v_add_nc_u32_e32 v30, v1, v30
	s_wait_kmcnt 0x0
	s_add_nc_u64 s[4:5], s[4:5], s[2:3]
	s_clause 0x6
	global_load_b128 v[14:17], v0, s[4:5] scale_offset
	global_load_b128 v[10:13], v0, s[4:5] offset:4096 scale_offset
	global_load_b128 v[6:9], v0, s[4:5] offset:8192 scale_offset
	;; [unrolled: 1-line block ×6, first 2 shown]
	s_wait_xcnt 0x0
	s_movk_i32 s4, 0x64
.LBB58_1:                               ; =>This Inner Loop Header: Depth=1
	s_wait_loadcnt 0x6
	ds_store_b128 v1, v[14:17]
	s_wait_loadcnt 0x5
	ds_store_b128 v1, v[10:13] offset:4096
	s_wait_loadcnt 0x4
	ds_store_b128 v1, v[6:9] offset:8192
	;; [unrolled: 2-line block ×6, first 2 shown]
	s_wait_dscnt 0x0
	s_barrier_signal -1
	s_barrier_wait -1
	ds_load_b128 v[14:17], v30
	ds_load_b128 v[10:13], v30 offset:16
	ds_load_b128 v[6:9], v30 offset:32
	;; [unrolled: 1-line block ×6, first 2 shown]
	s_add_co_i32 s4, s4, -1
	s_wait_dscnt 0x0
	s_cmp_lg_u32 s4, 0
	s_barrier_signal -1
	s_barrier_wait -1
	s_cbranch_scc1 .LBB58_1
; %bb.2:
	s_load_b64 s[0:1], s[0:1], 0x10
	v_mul_u32_u24_e32 v0, 7, v0
	s_wait_kmcnt 0x0
	s_add_nc_u64 s[0:1], s[0:1], s[2:3]
	s_clause 0x6
	global_store_b128 v0, v[14:17], s[0:1] scale_offset
	global_store_b128 v0, v[10:13], s[0:1] offset:16 scale_offset
	global_store_b128 v0, v[6:9], s[0:1] offset:32 scale_offset
	global_store_b128 v0, v[2:5], s[0:1] offset:48 scale_offset
	global_store_b128 v0, v[18:21], s[0:1] offset:64 scale_offset
	global_store_b128 v0, v[22:25], s[0:1] offset:80 scale_offset
	global_store_b128 v0, v[26:29], s[0:1] offset:96 scale_offset
	s_endpgm
	.section	.rodata,"a",@progbits
	.p2align	6, 0x0
	.amdhsa_kernel _Z6kernelI18striped_to_blockedN15benchmark_utils11custom_typeIddEELj256ELj7ELj100EEvPKT0_PKjPS4_
		.amdhsa_group_segment_fixed_size 28672
		.amdhsa_private_segment_fixed_size 0
		.amdhsa_kernarg_size 24
		.amdhsa_user_sgpr_count 2
		.amdhsa_user_sgpr_dispatch_ptr 0
		.amdhsa_user_sgpr_queue_ptr 0
		.amdhsa_user_sgpr_kernarg_segment_ptr 1
		.amdhsa_user_sgpr_dispatch_id 0
		.amdhsa_user_sgpr_kernarg_preload_length 0
		.amdhsa_user_sgpr_kernarg_preload_offset 0
		.amdhsa_user_sgpr_private_segment_size 0
		.amdhsa_wavefront_size32 1
		.amdhsa_uses_dynamic_stack 0
		.amdhsa_enable_private_segment 0
		.amdhsa_system_sgpr_workgroup_id_x 1
		.amdhsa_system_sgpr_workgroup_id_y 0
		.amdhsa_system_sgpr_workgroup_id_z 0
		.amdhsa_system_sgpr_workgroup_info 0
		.amdhsa_system_vgpr_workitem_id 0
		.amdhsa_next_free_vgpr 31
		.amdhsa_next_free_sgpr 7
		.amdhsa_named_barrier_count 0
		.amdhsa_reserve_vcc 0
		.amdhsa_float_round_mode_32 0
		.amdhsa_float_round_mode_16_64 0
		.amdhsa_float_denorm_mode_32 3
		.amdhsa_float_denorm_mode_16_64 3
		.amdhsa_fp16_overflow 0
		.amdhsa_memory_ordered 1
		.amdhsa_forward_progress 1
		.amdhsa_inst_pref_size 4
		.amdhsa_round_robin_scheduling 0
		.amdhsa_exception_fp_ieee_invalid_op 0
		.amdhsa_exception_fp_denorm_src 0
		.amdhsa_exception_fp_ieee_div_zero 0
		.amdhsa_exception_fp_ieee_overflow 0
		.amdhsa_exception_fp_ieee_underflow 0
		.amdhsa_exception_fp_ieee_inexact 0
		.amdhsa_exception_int_div_zero 0
	.end_amdhsa_kernel
	.section	.text._Z6kernelI18striped_to_blockedN15benchmark_utils11custom_typeIddEELj256ELj7ELj100EEvPKT0_PKjPS4_,"axG",@progbits,_Z6kernelI18striped_to_blockedN15benchmark_utils11custom_typeIddEELj256ELj7ELj100EEvPKT0_PKjPS4_,comdat
.Lfunc_end58:
	.size	_Z6kernelI18striped_to_blockedN15benchmark_utils11custom_typeIddEELj256ELj7ELj100EEvPKT0_PKjPS4_, .Lfunc_end58-_Z6kernelI18striped_to_blockedN15benchmark_utils11custom_typeIddEELj256ELj7ELj100EEvPKT0_PKjPS4_
                                        ; -- End function
	.set _Z6kernelI18striped_to_blockedN15benchmark_utils11custom_typeIddEELj256ELj7ELj100EEvPKT0_PKjPS4_.num_vgpr, 31
	.set _Z6kernelI18striped_to_blockedN15benchmark_utils11custom_typeIddEELj256ELj7ELj100EEvPKT0_PKjPS4_.num_agpr, 0
	.set _Z6kernelI18striped_to_blockedN15benchmark_utils11custom_typeIddEELj256ELj7ELj100EEvPKT0_PKjPS4_.numbered_sgpr, 7
	.set _Z6kernelI18striped_to_blockedN15benchmark_utils11custom_typeIddEELj256ELj7ELj100EEvPKT0_PKjPS4_.num_named_barrier, 0
	.set _Z6kernelI18striped_to_blockedN15benchmark_utils11custom_typeIddEELj256ELj7ELj100EEvPKT0_PKjPS4_.private_seg_size, 0
	.set _Z6kernelI18striped_to_blockedN15benchmark_utils11custom_typeIddEELj256ELj7ELj100EEvPKT0_PKjPS4_.uses_vcc, 0
	.set _Z6kernelI18striped_to_blockedN15benchmark_utils11custom_typeIddEELj256ELj7ELj100EEvPKT0_PKjPS4_.uses_flat_scratch, 0
	.set _Z6kernelI18striped_to_blockedN15benchmark_utils11custom_typeIddEELj256ELj7ELj100EEvPKT0_PKjPS4_.has_dyn_sized_stack, 0
	.set _Z6kernelI18striped_to_blockedN15benchmark_utils11custom_typeIddEELj256ELj7ELj100EEvPKT0_PKjPS4_.has_recursion, 0
	.set _Z6kernelI18striped_to_blockedN15benchmark_utils11custom_typeIddEELj256ELj7ELj100EEvPKT0_PKjPS4_.has_indirect_call, 0
	.section	.AMDGPU.csdata,"",@progbits
; Kernel info:
; codeLenInByte = 468
; TotalNumSgprs: 7
; NumVgprs: 31
; ScratchSize: 0
; MemoryBound: 1
; FloatMode: 240
; IeeeMode: 1
; LDSByteSize: 28672 bytes/workgroup (compile time only)
; SGPRBlocks: 0
; VGPRBlocks: 1
; NumSGPRsForWavesPerEU: 7
; NumVGPRsForWavesPerEU: 31
; NamedBarCnt: 0
; Occupancy: 16
; WaveLimiterHint : 1
; COMPUTE_PGM_RSRC2:SCRATCH_EN: 0
; COMPUTE_PGM_RSRC2:USER_SGPR: 2
; COMPUTE_PGM_RSRC2:TRAP_HANDLER: 0
; COMPUTE_PGM_RSRC2:TGID_X_EN: 1
; COMPUTE_PGM_RSRC2:TGID_Y_EN: 0
; COMPUTE_PGM_RSRC2:TGID_Z_EN: 0
; COMPUTE_PGM_RSRC2:TIDIG_COMP_CNT: 0
	.section	.text._Z6kernelI18striped_to_blockedN15benchmark_utils11custom_typeIddEELj256ELj8ELj100EEvPKT0_PKjPS4_,"axG",@progbits,_Z6kernelI18striped_to_blockedN15benchmark_utils11custom_typeIddEELj256ELj8ELj100EEvPKT0_PKjPS4_,comdat
	.protected	_Z6kernelI18striped_to_blockedN15benchmark_utils11custom_typeIddEELj256ELj8ELj100EEvPKT0_PKjPS4_ ; -- Begin function _Z6kernelI18striped_to_blockedN15benchmark_utils11custom_typeIddEELj256ELj8ELj100EEvPKT0_PKjPS4_
	.globl	_Z6kernelI18striped_to_blockedN15benchmark_utils11custom_typeIddEELj256ELj8ELj100EEvPKT0_PKjPS4_
	.p2align	8
	.type	_Z6kernelI18striped_to_blockedN15benchmark_utils11custom_typeIddEELj256ELj8ELj100EEvPKT0_PKjPS4_,@function
_Z6kernelI18striped_to_blockedN15benchmark_utils11custom_typeIddEELj256ELj8ELj100EEvPKT0_PKjPS4_: ; @_Z6kernelI18striped_to_blockedN15benchmark_utils11custom_typeIddEELj256ELj8ELj100EEvPKT0_PKjPS4_
; %bb.0:
	s_load_b64 s[4:5], s[0:1], 0x0
	s_bfe_u32 s2, ttmp6, 0x4000c
	s_and_b32 s3, ttmp6, 15
	s_add_co_i32 s2, s2, 1
	s_getreg_b32 s6, hwreg(HW_REG_IB_STS2, 6, 4)
	s_mul_i32 s2, ttmp9, s2
	v_or_b32_e32 v1, 0x100, v0
	s_add_co_i32 s3, s3, s2
	s_cmp_eq_u32 s6, 0
	v_or_b32_e32 v34, 0x200, v0
	s_cselect_b32 s2, ttmp9, s3
	s_mov_b32 s3, 0
	s_lshl_b32 s2, s2, 11
	v_dual_lshrrev_b32 v35, 1, v0 :: v_dual_lshrrev_b32 v1, 1, v1
	s_lshl_b64 s[2:3], s[2:3], 4
	v_dual_lshrrev_b32 v34, 1, v34 :: v_dual_lshlrev_b32 v41, 4, v0
	v_or_b32_e32 v36, 0x300, v0
	s_delay_alu instid0(VALU_DEP_3)
	v_and_b32_e32 v35, 0x70, v35
	s_wait_kmcnt 0x0
	s_add_nc_u64 s[4:5], s[4:5], s[2:3]
	v_and_b32_e32 v1, 0xf0, v1
	s_clause 0x7
	global_load_b128 v[14:17], v0, s[4:5] scale_offset
	global_load_b128 v[10:13], v0, s[4:5] offset:4096 scale_offset
	global_load_b128 v[6:9], v0, s[4:5] offset:8192 scale_offset
	;; [unrolled: 1-line block ×7, first 2 shown]
	v_and_b32_e32 v37, 0x170, v34
	v_dual_lshrrev_b32 v38, 1, v36 :: v_dual_add_nc_u32 v34, v35, v41
	v_or_b32_e32 v39, 0x600, v0
	v_or_b32_e32 v40, 0x700, v0
	s_delay_alu instid0(VALU_DEP_4) | instskip(NEXT) | instid1(VALU_DEP_4)
	v_add_nc_u32_e32 v36, v37, v41
	v_and_b32_e32 v37, 0x1f0, v38
	v_or_b32_e32 v38, 0x500, v0
	v_add_nc_u32_e32 v35, v1, v41
	v_or_b32_e32 v1, 0x400, v0
	s_delay_alu instid0(VALU_DEP_4) | instskip(NEXT) | instid1(VALU_DEP_4)
	v_dual_lshrrev_b32 v39, 1, v39 :: v_dual_add_nc_u32 v37, v37, v41
	v_lshrrev_b32_e32 v38, 1, v38
	s_wait_xcnt 0x0
	s_movk_i32 s4, 0x64
	v_lshrrev_b32_e32 v1, 1, v1
	v_and_b32_e32 v44, 0x370, v39
	v_and_b32_e32 v43, 0x2f0, v38
	v_lshlrev_b32_e32 v42, 2, v0
	s_delay_alu instid0(VALU_DEP_4) | instskip(NEXT) | instid1(VALU_DEP_3)
	v_and_b32_e32 v1, 0x270, v1
	v_dual_lshrrev_b32 v40, 1, v40 :: v_dual_add_nc_u32 v39, v43, v41
	s_delay_alu instid0(VALU_DEP_3) | instskip(NEXT) | instid1(VALU_DEP_3)
	v_and_b32_e32 v42, 0x3f0, v42
	v_add_nc_u32_e32 v38, v1, v41
	s_delay_alu instid0(VALU_DEP_3) | instskip(SKIP_1) | instid1(VALU_DEP_4)
	v_and_b32_e32 v45, 0x3f0, v40
	v_dual_add_nc_u32 v40, v44, v41 :: v_dual_lshlrev_b32 v1, 3, v0
	v_lshl_add_u32 v0, v0, 7, v42
	s_delay_alu instid0(VALU_DEP_3)
	v_add_nc_u32_e32 v41, v45, v41
.LBB59_1:                               ; =>This Inner Loop Header: Depth=1
	s_wait_loadcnt 0x7
	ds_store_b128 v34, v[14:17]
	s_wait_loadcnt 0x6
	ds_store_b128 v35, v[10:13] offset:4096
	s_wait_loadcnt 0x5
	ds_store_b128 v36, v[6:9] offset:8192
	s_wait_loadcnt 0x4
	ds_store_b128 v37, v[2:5] offset:12288
	s_wait_loadcnt 0x3
	ds_store_b128 v38, v[18:21] offset:16384
	s_wait_loadcnt 0x2
	ds_store_b128 v39, v[22:25] offset:20480
	s_wait_loadcnt 0x1
	ds_store_b128 v40, v[26:29] offset:24576
	s_wait_loadcnt 0x0
	ds_store_b128 v41, v[30:33] offset:28672
	s_wait_dscnt 0x0
	s_barrier_signal -1
	s_barrier_wait -1
	ds_load_b128 v[14:17], v0
	ds_load_b128 v[10:13], v0 offset:16
	ds_load_b128 v[6:9], v0 offset:32
	;; [unrolled: 1-line block ×7, first 2 shown]
	s_add_co_i32 s4, s4, -1
	s_wait_dscnt 0x0
	s_cmp_lg_u32 s4, 0
	s_barrier_signal -1
	s_barrier_wait -1
	s_cbranch_scc1 .LBB59_1
; %bb.2:
	s_load_b64 s[0:1], s[0:1], 0x10
	s_wait_kmcnt 0x0
	s_add_nc_u64 s[0:1], s[0:1], s[2:3]
	s_clause 0x7
	global_store_b128 v1, v[14:17], s[0:1] scale_offset
	global_store_b128 v1, v[10:13], s[0:1] offset:16 scale_offset
	global_store_b128 v1, v[6:9], s[0:1] offset:32 scale_offset
	global_store_b128 v1, v[2:5], s[0:1] offset:48 scale_offset
	global_store_b128 v1, v[18:21], s[0:1] offset:64 scale_offset
	global_store_b128 v1, v[22:25], s[0:1] offset:80 scale_offset
	global_store_b128 v1, v[26:29], s[0:1] offset:96 scale_offset
	global_store_b128 v1, v[30:33], s[0:1] offset:112 scale_offset
	s_endpgm
	.section	.rodata,"a",@progbits
	.p2align	6, 0x0
	.amdhsa_kernel _Z6kernelI18striped_to_blockedN15benchmark_utils11custom_typeIddEELj256ELj8ELj100EEvPKT0_PKjPS4_
		.amdhsa_group_segment_fixed_size 33792
		.amdhsa_private_segment_fixed_size 0
		.amdhsa_kernarg_size 24
		.amdhsa_user_sgpr_count 2
		.amdhsa_user_sgpr_dispatch_ptr 0
		.amdhsa_user_sgpr_queue_ptr 0
		.amdhsa_user_sgpr_kernarg_segment_ptr 1
		.amdhsa_user_sgpr_dispatch_id 0
		.amdhsa_user_sgpr_kernarg_preload_length 0
		.amdhsa_user_sgpr_kernarg_preload_offset 0
		.amdhsa_user_sgpr_private_segment_size 0
		.amdhsa_wavefront_size32 1
		.amdhsa_uses_dynamic_stack 0
		.amdhsa_enable_private_segment 0
		.amdhsa_system_sgpr_workgroup_id_x 1
		.amdhsa_system_sgpr_workgroup_id_y 0
		.amdhsa_system_sgpr_workgroup_id_z 0
		.amdhsa_system_sgpr_workgroup_info 0
		.amdhsa_system_vgpr_workitem_id 0
		.amdhsa_next_free_vgpr 46
		.amdhsa_next_free_sgpr 7
		.amdhsa_named_barrier_count 0
		.amdhsa_reserve_vcc 0
		.amdhsa_float_round_mode_32 0
		.amdhsa_float_round_mode_16_64 0
		.amdhsa_float_denorm_mode_32 3
		.amdhsa_float_denorm_mode_16_64 3
		.amdhsa_fp16_overflow 0
		.amdhsa_memory_ordered 1
		.amdhsa_forward_progress 1
		.amdhsa_inst_pref_size 6
		.amdhsa_round_robin_scheduling 0
		.amdhsa_exception_fp_ieee_invalid_op 0
		.amdhsa_exception_fp_denorm_src 0
		.amdhsa_exception_fp_ieee_div_zero 0
		.amdhsa_exception_fp_ieee_overflow 0
		.amdhsa_exception_fp_ieee_underflow 0
		.amdhsa_exception_fp_ieee_inexact 0
		.amdhsa_exception_int_div_zero 0
	.end_amdhsa_kernel
	.section	.text._Z6kernelI18striped_to_blockedN15benchmark_utils11custom_typeIddEELj256ELj8ELj100EEvPKT0_PKjPS4_,"axG",@progbits,_Z6kernelI18striped_to_blockedN15benchmark_utils11custom_typeIddEELj256ELj8ELj100EEvPKT0_PKjPS4_,comdat
.Lfunc_end59:
	.size	_Z6kernelI18striped_to_blockedN15benchmark_utils11custom_typeIddEELj256ELj8ELj100EEvPKT0_PKjPS4_, .Lfunc_end59-_Z6kernelI18striped_to_blockedN15benchmark_utils11custom_typeIddEELj256ELj8ELj100EEvPKT0_PKjPS4_
                                        ; -- End function
	.set _Z6kernelI18striped_to_blockedN15benchmark_utils11custom_typeIddEELj256ELj8ELj100EEvPKT0_PKjPS4_.num_vgpr, 46
	.set _Z6kernelI18striped_to_blockedN15benchmark_utils11custom_typeIddEELj256ELj8ELj100EEvPKT0_PKjPS4_.num_agpr, 0
	.set _Z6kernelI18striped_to_blockedN15benchmark_utils11custom_typeIddEELj256ELj8ELj100EEvPKT0_PKjPS4_.numbered_sgpr, 7
	.set _Z6kernelI18striped_to_blockedN15benchmark_utils11custom_typeIddEELj256ELj8ELj100EEvPKT0_PKjPS4_.num_named_barrier, 0
	.set _Z6kernelI18striped_to_blockedN15benchmark_utils11custom_typeIddEELj256ELj8ELj100EEvPKT0_PKjPS4_.private_seg_size, 0
	.set _Z6kernelI18striped_to_blockedN15benchmark_utils11custom_typeIddEELj256ELj8ELj100EEvPKT0_PKjPS4_.uses_vcc, 0
	.set _Z6kernelI18striped_to_blockedN15benchmark_utils11custom_typeIddEELj256ELj8ELj100EEvPKT0_PKjPS4_.uses_flat_scratch, 0
	.set _Z6kernelI18striped_to_blockedN15benchmark_utils11custom_typeIddEELj256ELj8ELj100EEvPKT0_PKjPS4_.has_dyn_sized_stack, 0
	.set _Z6kernelI18striped_to_blockedN15benchmark_utils11custom_typeIddEELj256ELj8ELj100EEvPKT0_PKjPS4_.has_recursion, 0
	.set _Z6kernelI18striped_to_blockedN15benchmark_utils11custom_typeIddEELj256ELj8ELj100EEvPKT0_PKjPS4_.has_indirect_call, 0
	.section	.AMDGPU.csdata,"",@progbits
; Kernel info:
; codeLenInByte = 752
; TotalNumSgprs: 7
; NumVgprs: 46
; ScratchSize: 0
; MemoryBound: 0
; FloatMode: 240
; IeeeMode: 1
; LDSByteSize: 33792 bytes/workgroup (compile time only)
; SGPRBlocks: 0
; VGPRBlocks: 2
; NumSGPRsForWavesPerEU: 7
; NumVGPRsForWavesPerEU: 46
; NamedBarCnt: 0
; Occupancy: 16
; WaveLimiterHint : 1
; COMPUTE_PGM_RSRC2:SCRATCH_EN: 0
; COMPUTE_PGM_RSRC2:USER_SGPR: 2
; COMPUTE_PGM_RSRC2:TRAP_HANDLER: 0
; COMPUTE_PGM_RSRC2:TGID_X_EN: 1
; COMPUTE_PGM_RSRC2:TGID_Y_EN: 0
; COMPUTE_PGM_RSRC2:TGID_Z_EN: 0
; COMPUTE_PGM_RSRC2:TIDIG_COMP_CNT: 0
	.section	.text._Z6kernelI23blocked_to_warp_stripediLj256ELj1ELj100EEvPKT0_PKjPS1_,"axG",@progbits,_Z6kernelI23blocked_to_warp_stripediLj256ELj1ELj100EEvPKT0_PKjPS1_,comdat
	.protected	_Z6kernelI23blocked_to_warp_stripediLj256ELj1ELj100EEvPKT0_PKjPS1_ ; -- Begin function _Z6kernelI23blocked_to_warp_stripediLj256ELj1ELj100EEvPKT0_PKjPS1_
	.globl	_Z6kernelI23blocked_to_warp_stripediLj256ELj1ELj100EEvPKT0_PKjPS1_
	.p2align	8
	.type	_Z6kernelI23blocked_to_warp_stripediLj256ELj1ELj100EEvPKT0_PKjPS1_,@function
_Z6kernelI23blocked_to_warp_stripediLj256ELj1ELj100EEvPKT0_PKjPS1_: ; @_Z6kernelI23blocked_to_warp_stripediLj256ELj1ELj100EEvPKT0_PKjPS1_
; %bb.0:
	s_load_b64 s[4:5], s[0:1], 0x0
	s_bfe_u32 s2, ttmp6, 0x4000c
	s_and_b32 s3, ttmp6, 15
	s_add_co_i32 s2, s2, 1
	s_getreg_b32 s6, hwreg(HW_REG_IB_STS2, 6, 4)
	s_mul_i32 s2, ttmp9, s2
	v_mbcnt_lo_u32_b32 v2, -1, 0
	s_add_co_i32 s3, s3, s2
	s_cmp_eq_u32 s6, 0
	s_cselect_b32 s2, ttmp9, s3
	s_mov_b32 s3, 0
	s_lshl_b32 s2, s2, 8
	s_delay_alu instid0(SALU_CYCLE_1)
	s_lshl_b64 s[2:3], s[2:3], 2
	s_wait_kmcnt 0x0
	s_add_nc_u64 s[4:5], s[4:5], s[2:3]
	global_load_b32 v1, v0, s[4:5] scale_offset
	s_wait_xcnt 0x0
	v_and_b32_e32 v0, 0xc0, v0
	s_movk_i32 s4, 0x64
	s_delay_alu instid0(VALU_DEP_1) | instskip(NEXT) | instid1(VALU_DEP_1)
	v_or_b32_e32 v3, v2, v0
	v_lshlrev_b32_e32 v3, 2, v3
.LBB60_1:                               ; =>This Inner Loop Header: Depth=1
	s_wait_loadcnt 0x0
	ds_store_b32 v3, v1
	; wave barrier
	ds_load_b32 v1, v3
	s_add_co_i32 s4, s4, -1
	s_wait_dscnt 0x0
	s_cmp_lg_u32 s4, 0
	s_barrier_signal -1
	s_barrier_wait -1
	s_cbranch_scc1 .LBB60_1
; %bb.2:
	s_load_b64 s[0:1], s[0:1], 0x10
	v_dual_mov_b32 v3, 0 :: v_dual_lshlrev_b32 v2, 2, v2
	s_wait_kmcnt 0x0
	s_add_nc_u64 s[0:1], s[0:1], s[2:3]
	s_delay_alu instid0(VALU_DEP_1) | instid1(SALU_CYCLE_1)
	v_add_nc_u64_e32 v[4:5], s[0:1], v[2:3]
	v_lshlrev_b32_e32 v2, 2, v0
	s_delay_alu instid0(VALU_DEP_1)
	v_add_nc_u64_e32 v[2:3], v[4:5], v[2:3]
	global_store_b32 v[2:3], v1, off
	s_endpgm
	.section	.rodata,"a",@progbits
	.p2align	6, 0x0
	.amdhsa_kernel _Z6kernelI23blocked_to_warp_stripediLj256ELj1ELj100EEvPKT0_PKjPS1_
		.amdhsa_group_segment_fixed_size 1024
		.amdhsa_private_segment_fixed_size 0
		.amdhsa_kernarg_size 24
		.amdhsa_user_sgpr_count 2
		.amdhsa_user_sgpr_dispatch_ptr 0
		.amdhsa_user_sgpr_queue_ptr 0
		.amdhsa_user_sgpr_kernarg_segment_ptr 1
		.amdhsa_user_sgpr_dispatch_id 0
		.amdhsa_user_sgpr_kernarg_preload_length 0
		.amdhsa_user_sgpr_kernarg_preload_offset 0
		.amdhsa_user_sgpr_private_segment_size 0
		.amdhsa_wavefront_size32 1
		.amdhsa_uses_dynamic_stack 0
		.amdhsa_enable_private_segment 0
		.amdhsa_system_sgpr_workgroup_id_x 1
		.amdhsa_system_sgpr_workgroup_id_y 0
		.amdhsa_system_sgpr_workgroup_id_z 0
		.amdhsa_system_sgpr_workgroup_info 0
		.amdhsa_system_vgpr_workitem_id 0
		.amdhsa_next_free_vgpr 6
		.amdhsa_next_free_sgpr 7
		.amdhsa_named_barrier_count 0
		.amdhsa_reserve_vcc 0
		.amdhsa_float_round_mode_32 0
		.amdhsa_float_round_mode_16_64 0
		.amdhsa_float_denorm_mode_32 3
		.amdhsa_float_denorm_mode_16_64 3
		.amdhsa_fp16_overflow 0
		.amdhsa_memory_ordered 1
		.amdhsa_forward_progress 1
		.amdhsa_inst_pref_size 2
		.amdhsa_round_robin_scheduling 0
		.amdhsa_exception_fp_ieee_invalid_op 0
		.amdhsa_exception_fp_denorm_src 0
		.amdhsa_exception_fp_ieee_div_zero 0
		.amdhsa_exception_fp_ieee_overflow 0
		.amdhsa_exception_fp_ieee_underflow 0
		.amdhsa_exception_fp_ieee_inexact 0
		.amdhsa_exception_int_div_zero 0
	.end_amdhsa_kernel
	.section	.text._Z6kernelI23blocked_to_warp_stripediLj256ELj1ELj100EEvPKT0_PKjPS1_,"axG",@progbits,_Z6kernelI23blocked_to_warp_stripediLj256ELj1ELj100EEvPKT0_PKjPS1_,comdat
.Lfunc_end60:
	.size	_Z6kernelI23blocked_to_warp_stripediLj256ELj1ELj100EEvPKT0_PKjPS1_, .Lfunc_end60-_Z6kernelI23blocked_to_warp_stripediLj256ELj1ELj100EEvPKT0_PKjPS1_
                                        ; -- End function
	.set _Z6kernelI23blocked_to_warp_stripediLj256ELj1ELj100EEvPKT0_PKjPS1_.num_vgpr, 6
	.set _Z6kernelI23blocked_to_warp_stripediLj256ELj1ELj100EEvPKT0_PKjPS1_.num_agpr, 0
	.set _Z6kernelI23blocked_to_warp_stripediLj256ELj1ELj100EEvPKT0_PKjPS1_.numbered_sgpr, 7
	.set _Z6kernelI23blocked_to_warp_stripediLj256ELj1ELj100EEvPKT0_PKjPS1_.num_named_barrier, 0
	.set _Z6kernelI23blocked_to_warp_stripediLj256ELj1ELj100EEvPKT0_PKjPS1_.private_seg_size, 0
	.set _Z6kernelI23blocked_to_warp_stripediLj256ELj1ELj100EEvPKT0_PKjPS1_.uses_vcc, 0
	.set _Z6kernelI23blocked_to_warp_stripediLj256ELj1ELj100EEvPKT0_PKjPS1_.uses_flat_scratch, 0
	.set _Z6kernelI23blocked_to_warp_stripediLj256ELj1ELj100EEvPKT0_PKjPS1_.has_dyn_sized_stack, 0
	.set _Z6kernelI23blocked_to_warp_stripediLj256ELj1ELj100EEvPKT0_PKjPS1_.has_recursion, 0
	.set _Z6kernelI23blocked_to_warp_stripediLj256ELj1ELj100EEvPKT0_PKjPS1_.has_indirect_call, 0
	.section	.AMDGPU.csdata,"",@progbits
; Kernel info:
; codeLenInByte = 220
; TotalNumSgprs: 7
; NumVgprs: 6
; ScratchSize: 0
; MemoryBound: 0
; FloatMode: 240
; IeeeMode: 1
; LDSByteSize: 1024 bytes/workgroup (compile time only)
; SGPRBlocks: 0
; VGPRBlocks: 0
; NumSGPRsForWavesPerEU: 7
; NumVGPRsForWavesPerEU: 6
; NamedBarCnt: 0
; Occupancy: 16
; WaveLimiterHint : 0
; COMPUTE_PGM_RSRC2:SCRATCH_EN: 0
; COMPUTE_PGM_RSRC2:USER_SGPR: 2
; COMPUTE_PGM_RSRC2:TRAP_HANDLER: 0
; COMPUTE_PGM_RSRC2:TGID_X_EN: 1
; COMPUTE_PGM_RSRC2:TGID_Y_EN: 0
; COMPUTE_PGM_RSRC2:TGID_Z_EN: 0
; COMPUTE_PGM_RSRC2:TIDIG_COMP_CNT: 0
	.section	.text._Z6kernelI23blocked_to_warp_stripediLj256ELj2ELj100EEvPKT0_PKjPS1_,"axG",@progbits,_Z6kernelI23blocked_to_warp_stripediLj256ELj2ELj100EEvPKT0_PKjPS1_,comdat
	.protected	_Z6kernelI23blocked_to_warp_stripediLj256ELj2ELj100EEvPKT0_PKjPS1_ ; -- Begin function _Z6kernelI23blocked_to_warp_stripediLj256ELj2ELj100EEvPKT0_PKjPS1_
	.globl	_Z6kernelI23blocked_to_warp_stripediLj256ELj2ELj100EEvPKT0_PKjPS1_
	.p2align	8
	.type	_Z6kernelI23blocked_to_warp_stripediLj256ELj2ELj100EEvPKT0_PKjPS1_,@function
_Z6kernelI23blocked_to_warp_stripediLj256ELj2ELj100EEvPKT0_PKjPS1_: ; @_Z6kernelI23blocked_to_warp_stripediLj256ELj2ELj100EEvPKT0_PKjPS1_
; %bb.0:
	s_load_b64 s[4:5], s[0:1], 0x0
	s_bfe_u32 s2, ttmp6, 0x4000c
	s_and_b32 s3, ttmp6, 15
	s_add_co_i32 s2, s2, 1
	s_getreg_b32 s6, hwreg(HW_REG_IB_STS2, 6, 4)
	s_mul_i32 s2, ttmp9, s2
	v_mbcnt_lo_u32_b32 v1, -1, 0
	s_add_co_i32 s3, s3, s2
	s_cmp_eq_u32 s6, 0
	v_lshlrev_b32_e32 v4, 1, v0
	s_cselect_b32 s2, ttmp9, s3
	s_mov_b32 s3, 0
	s_lshl_b32 s2, s2, 9
	v_and_or_b32 v5, 0xc0, v0, v1
	s_lshl_b64 s[2:3], s[2:3], 2
	s_wait_kmcnt 0x0
	s_add_nc_u64 s[4:5], s[4:5], s[2:3]
	global_load_b64 v[2:3], v0, s[4:5] scale_offset
	s_wait_xcnt 0x0
	v_and_b32_e32 v0, 0x180, v4
	v_lshrrev_b32_e32 v4, 2, v5
	s_movk_i32 s4, 0x64
	s_delay_alu instid0(VALU_DEP_2) | instskip(SKIP_1) | instid1(VALU_DEP_3)
	v_or_b32_e32 v6, v1, v0
	v_or_b32_e32 v7, 64, v0
	v_and_b32_e32 v4, 52, v4
	s_delay_alu instid0(VALU_DEP_3) | instskip(NEXT) | instid1(VALU_DEP_3)
	v_dual_lshrrev_b32 v8, 3, v0 :: v_dual_lshlrev_b32 v6, 2, v6
	v_lshrrev_b32_e32 v7, 3, v7
	s_delay_alu instid0(VALU_DEP_3) | instskip(NEXT) | instid1(VALU_DEP_2)
	v_lshl_add_u32 v4, v5, 3, v4
	v_dual_add_nc_u32 v5, v8, v6 :: v_dual_add_nc_u32 v6, v7, v6
.LBB61_1:                               ; =>This Inner Loop Header: Depth=1
	s_wait_loadcnt 0x0
	ds_store_2addr_b32 v4, v2, v3 offset1:1
	; wave barrier
	ds_load_b32 v2, v5
	ds_load_b32 v3, v6 offset:256
	s_add_co_i32 s4, s4, -1
	s_wait_dscnt 0x0
	s_cmp_lg_u32 s4, 0
	s_barrier_signal -1
	s_barrier_wait -1
	s_cbranch_scc1 .LBB61_1
; %bb.2:
	s_load_b64 s[0:1], s[0:1], 0x10
	v_dual_mov_b32 v5, 0 :: v_dual_lshlrev_b32 v4, 2, v1
	s_wait_kmcnt 0x0
	s_add_nc_u64 s[0:1], s[0:1], s[2:3]
	s_delay_alu instid0(VALU_DEP_1) | instid1(SALU_CYCLE_1)
	v_add_nc_u64_e32 v[6:7], s[0:1], v[4:5]
	v_lshlrev_b32_e32 v4, 2, v0
	s_delay_alu instid0(VALU_DEP_1)
	v_add_nc_u64_e32 v[0:1], v[6:7], v[4:5]
	s_clause 0x1
	global_store_b32 v[0:1], v2, off
	global_store_b32 v[0:1], v3, off offset:256
	s_endpgm
	.section	.rodata,"a",@progbits
	.p2align	6, 0x0
	.amdhsa_kernel _Z6kernelI23blocked_to_warp_stripediLj256ELj2ELj100EEvPKT0_PKjPS1_
		.amdhsa_group_segment_fixed_size 2112
		.amdhsa_private_segment_fixed_size 0
		.amdhsa_kernarg_size 24
		.amdhsa_user_sgpr_count 2
		.amdhsa_user_sgpr_dispatch_ptr 0
		.amdhsa_user_sgpr_queue_ptr 0
		.amdhsa_user_sgpr_kernarg_segment_ptr 1
		.amdhsa_user_sgpr_dispatch_id 0
		.amdhsa_user_sgpr_kernarg_preload_length 0
		.amdhsa_user_sgpr_kernarg_preload_offset 0
		.amdhsa_user_sgpr_private_segment_size 0
		.amdhsa_wavefront_size32 1
		.amdhsa_uses_dynamic_stack 0
		.amdhsa_enable_private_segment 0
		.amdhsa_system_sgpr_workgroup_id_x 1
		.amdhsa_system_sgpr_workgroup_id_y 0
		.amdhsa_system_sgpr_workgroup_id_z 0
		.amdhsa_system_sgpr_workgroup_info 0
		.amdhsa_system_vgpr_workitem_id 0
		.amdhsa_next_free_vgpr 9
		.amdhsa_next_free_sgpr 7
		.amdhsa_named_barrier_count 0
		.amdhsa_reserve_vcc 0
		.amdhsa_float_round_mode_32 0
		.amdhsa_float_round_mode_16_64 0
		.amdhsa_float_denorm_mode_32 3
		.amdhsa_float_denorm_mode_16_64 3
		.amdhsa_fp16_overflow 0
		.amdhsa_memory_ordered 1
		.amdhsa_forward_progress 1
		.amdhsa_inst_pref_size 3
		.amdhsa_round_robin_scheduling 0
		.amdhsa_exception_fp_ieee_invalid_op 0
		.amdhsa_exception_fp_denorm_src 0
		.amdhsa_exception_fp_ieee_div_zero 0
		.amdhsa_exception_fp_ieee_overflow 0
		.amdhsa_exception_fp_ieee_underflow 0
		.amdhsa_exception_fp_ieee_inexact 0
		.amdhsa_exception_int_div_zero 0
	.end_amdhsa_kernel
	.section	.text._Z6kernelI23blocked_to_warp_stripediLj256ELj2ELj100EEvPKT0_PKjPS1_,"axG",@progbits,_Z6kernelI23blocked_to_warp_stripediLj256ELj2ELj100EEvPKT0_PKjPS1_,comdat
.Lfunc_end61:
	.size	_Z6kernelI23blocked_to_warp_stripediLj256ELj2ELj100EEvPKT0_PKjPS1_, .Lfunc_end61-_Z6kernelI23blocked_to_warp_stripediLj256ELj2ELj100EEvPKT0_PKjPS1_
                                        ; -- End function
	.set _Z6kernelI23blocked_to_warp_stripediLj256ELj2ELj100EEvPKT0_PKjPS1_.num_vgpr, 9
	.set _Z6kernelI23blocked_to_warp_stripediLj256ELj2ELj100EEvPKT0_PKjPS1_.num_agpr, 0
	.set _Z6kernelI23blocked_to_warp_stripediLj256ELj2ELj100EEvPKT0_PKjPS1_.numbered_sgpr, 7
	.set _Z6kernelI23blocked_to_warp_stripediLj256ELj2ELj100EEvPKT0_PKjPS1_.num_named_barrier, 0
	.set _Z6kernelI23blocked_to_warp_stripediLj256ELj2ELj100EEvPKT0_PKjPS1_.private_seg_size, 0
	.set _Z6kernelI23blocked_to_warp_stripediLj256ELj2ELj100EEvPKT0_PKjPS1_.uses_vcc, 0
	.set _Z6kernelI23blocked_to_warp_stripediLj256ELj2ELj100EEvPKT0_PKjPS1_.uses_flat_scratch, 0
	.set _Z6kernelI23blocked_to_warp_stripediLj256ELj2ELj100EEvPKT0_PKjPS1_.has_dyn_sized_stack, 0
	.set _Z6kernelI23blocked_to_warp_stripediLj256ELj2ELj100EEvPKT0_PKjPS1_.has_recursion, 0
	.set _Z6kernelI23blocked_to_warp_stripediLj256ELj2ELj100EEvPKT0_PKjPS1_.has_indirect_call, 0
	.section	.AMDGPU.csdata,"",@progbits
; Kernel info:
; codeLenInByte = 308
; TotalNumSgprs: 7
; NumVgprs: 9
; ScratchSize: 0
; MemoryBound: 0
; FloatMode: 240
; IeeeMode: 1
; LDSByteSize: 2112 bytes/workgroup (compile time only)
; SGPRBlocks: 0
; VGPRBlocks: 0
; NumSGPRsForWavesPerEU: 7
; NumVGPRsForWavesPerEU: 9
; NamedBarCnt: 0
; Occupancy: 16
; WaveLimiterHint : 1
; COMPUTE_PGM_RSRC2:SCRATCH_EN: 0
; COMPUTE_PGM_RSRC2:USER_SGPR: 2
; COMPUTE_PGM_RSRC2:TRAP_HANDLER: 0
; COMPUTE_PGM_RSRC2:TGID_X_EN: 1
; COMPUTE_PGM_RSRC2:TGID_Y_EN: 0
; COMPUTE_PGM_RSRC2:TGID_Z_EN: 0
; COMPUTE_PGM_RSRC2:TIDIG_COMP_CNT: 0
	.section	.text._Z6kernelI23blocked_to_warp_stripediLj256ELj3ELj100EEvPKT0_PKjPS1_,"axG",@progbits,_Z6kernelI23blocked_to_warp_stripediLj256ELj3ELj100EEvPKT0_PKjPS1_,comdat
	.protected	_Z6kernelI23blocked_to_warp_stripediLj256ELj3ELj100EEvPKT0_PKjPS1_ ; -- Begin function _Z6kernelI23blocked_to_warp_stripediLj256ELj3ELj100EEvPKT0_PKjPS1_
	.globl	_Z6kernelI23blocked_to_warp_stripediLj256ELj3ELj100EEvPKT0_PKjPS1_
	.p2align	8
	.type	_Z6kernelI23blocked_to_warp_stripediLj256ELj3ELj100EEvPKT0_PKjPS1_,@function
_Z6kernelI23blocked_to_warp_stripediLj256ELj3ELj100EEvPKT0_PKjPS1_: ; @_Z6kernelI23blocked_to_warp_stripediLj256ELj3ELj100EEvPKT0_PKjPS1_
; %bb.0:
	s_load_b64 s[4:5], s[0:1], 0x0
	s_bfe_u32 s2, ttmp6, 0x4000c
	s_and_b32 s3, ttmp6, 15
	s_add_co_i32 s2, s2, 1
	s_getreg_b32 s6, hwreg(HW_REG_IB_STS2, 6, 4)
	s_mul_i32 s2, ttmp9, s2
	v_mul_u32_u24_e32 v1, 3, v0
	s_add_co_i32 s3, s3, s2
	s_cmp_eq_u32 s6, 0
	s_cselect_b32 s2, ttmp9, s3
	s_mov_b32 s3, 0
	s_mulk_i32 s2, 0x300
	v_lshlrev_b32_e32 v1, 2, v1
	s_lshl_b64 s[2:3], s[2:3], 2
	s_wait_kmcnt 0x0
	s_add_nc_u64 s[4:5], s[4:5], s[2:3]
	global_load_b96 v[2:4], v1, s[4:5]
	s_wait_xcnt 0x0
	v_lshrrev_b32_e32 v1, 6, v0
	s_movk_i32 s4, 0x64
	s_delay_alu instid0(VALU_DEP_1) | instskip(SKIP_1) | instid1(VALU_DEP_2)
	v_mul_u32_u24_e32 v5, 0xc0, v1
	v_mbcnt_lo_u32_b32 v1, -1, 0
	v_lshlrev_b32_e32 v6, 2, v5
	s_delay_alu instid0(VALU_DEP_1)
	v_mad_u32_u24 v5, v1, 12, v6
	v_lshl_or_b32 v6, v1, 2, v6
.LBB62_1:                               ; =>This Inner Loop Header: Depth=1
	s_wait_loadcnt 0x0
	ds_store_2addr_b32 v5, v2, v3 offset1:1
	ds_store_b32 v5, v4 offset:8
	; wave barrier
	ds_load_2addr_stride64_b32 v[2:3], v6 offset1:1
	ds_load_b32 v4, v6 offset:512
	s_add_co_i32 s4, s4, -1
	s_wait_dscnt 0x0
	s_cmp_lg_u32 s4, 0
	s_barrier_signal -1
	s_barrier_wait -1
	s_cbranch_scc1 .LBB62_1
; %bb.2:
	s_load_b64 s[0:1], s[0:1], 0x10
	v_and_b32_e32 v5, 0xc0, v0
	v_dual_mov_b32 v1, 0 :: v_dual_lshlrev_b32 v0, 2, v1
	s_delay_alu instid0(VALU_DEP_2)
	v_mul_u32_u24_e32 v5, 3, v5
	s_wait_kmcnt 0x0
	s_add_nc_u64 s[0:1], s[0:1], s[2:3]
	s_delay_alu instid0(VALU_DEP_2) | instid1(SALU_CYCLE_1)
	v_add_nc_u64_e32 v[6:7], s[0:1], v[0:1]
	s_delay_alu instid0(VALU_DEP_2) | instskip(NEXT) | instid1(VALU_DEP_1)
	v_lshlrev_b32_e32 v0, 2, v5
	v_add_nc_u64_e32 v[0:1], v[6:7], v[0:1]
	s_clause 0x2
	global_store_b32 v[0:1], v2, off
	global_store_b32 v[0:1], v3, off offset:256
	global_store_b32 v[0:1], v4, off offset:512
	s_endpgm
	.section	.rodata,"a",@progbits
	.p2align	6, 0x0
	.amdhsa_kernel _Z6kernelI23blocked_to_warp_stripediLj256ELj3ELj100EEvPKT0_PKjPS1_
		.amdhsa_group_segment_fixed_size 3072
		.amdhsa_private_segment_fixed_size 0
		.amdhsa_kernarg_size 24
		.amdhsa_user_sgpr_count 2
		.amdhsa_user_sgpr_dispatch_ptr 0
		.amdhsa_user_sgpr_queue_ptr 0
		.amdhsa_user_sgpr_kernarg_segment_ptr 1
		.amdhsa_user_sgpr_dispatch_id 0
		.amdhsa_user_sgpr_kernarg_preload_length 0
		.amdhsa_user_sgpr_kernarg_preload_offset 0
		.amdhsa_user_sgpr_private_segment_size 0
		.amdhsa_wavefront_size32 1
		.amdhsa_uses_dynamic_stack 0
		.amdhsa_enable_private_segment 0
		.amdhsa_system_sgpr_workgroup_id_x 1
		.amdhsa_system_sgpr_workgroup_id_y 0
		.amdhsa_system_sgpr_workgroup_id_z 0
		.amdhsa_system_sgpr_workgroup_info 0
		.amdhsa_system_vgpr_workitem_id 0
		.amdhsa_next_free_vgpr 8
		.amdhsa_next_free_sgpr 7
		.amdhsa_named_barrier_count 0
		.amdhsa_reserve_vcc 0
		.amdhsa_float_round_mode_32 0
		.amdhsa_float_round_mode_16_64 0
		.amdhsa_float_denorm_mode_32 3
		.amdhsa_float_denorm_mode_16_64 3
		.amdhsa_fp16_overflow 0
		.amdhsa_memory_ordered 1
		.amdhsa_forward_progress 1
		.amdhsa_inst_pref_size 3
		.amdhsa_round_robin_scheduling 0
		.amdhsa_exception_fp_ieee_invalid_op 0
		.amdhsa_exception_fp_denorm_src 0
		.amdhsa_exception_fp_ieee_div_zero 0
		.amdhsa_exception_fp_ieee_overflow 0
		.amdhsa_exception_fp_ieee_underflow 0
		.amdhsa_exception_fp_ieee_inexact 0
		.amdhsa_exception_int_div_zero 0
	.end_amdhsa_kernel
	.section	.text._Z6kernelI23blocked_to_warp_stripediLj256ELj3ELj100EEvPKT0_PKjPS1_,"axG",@progbits,_Z6kernelI23blocked_to_warp_stripediLj256ELj3ELj100EEvPKT0_PKjPS1_,comdat
.Lfunc_end62:
	.size	_Z6kernelI23blocked_to_warp_stripediLj256ELj3ELj100EEvPKT0_PKjPS1_, .Lfunc_end62-_Z6kernelI23blocked_to_warp_stripediLj256ELj3ELj100EEvPKT0_PKjPS1_
                                        ; -- End function
	.set _Z6kernelI23blocked_to_warp_stripediLj256ELj3ELj100EEvPKT0_PKjPS1_.num_vgpr, 8
	.set _Z6kernelI23blocked_to_warp_stripediLj256ELj3ELj100EEvPKT0_PKjPS1_.num_agpr, 0
	.set _Z6kernelI23blocked_to_warp_stripediLj256ELj3ELj100EEvPKT0_PKjPS1_.numbered_sgpr, 7
	.set _Z6kernelI23blocked_to_warp_stripediLj256ELj3ELj100EEvPKT0_PKjPS1_.num_named_barrier, 0
	.set _Z6kernelI23blocked_to_warp_stripediLj256ELj3ELj100EEvPKT0_PKjPS1_.private_seg_size, 0
	.set _Z6kernelI23blocked_to_warp_stripediLj256ELj3ELj100EEvPKT0_PKjPS1_.uses_vcc, 0
	.set _Z6kernelI23blocked_to_warp_stripediLj256ELj3ELj100EEvPKT0_PKjPS1_.uses_flat_scratch, 0
	.set _Z6kernelI23blocked_to_warp_stripediLj256ELj3ELj100EEvPKT0_PKjPS1_.has_dyn_sized_stack, 0
	.set _Z6kernelI23blocked_to_warp_stripediLj256ELj3ELj100EEvPKT0_PKjPS1_.has_recursion, 0
	.set _Z6kernelI23blocked_to_warp_stripediLj256ELj3ELj100EEvPKT0_PKjPS1_.has_indirect_call, 0
	.section	.AMDGPU.csdata,"",@progbits
; Kernel info:
; codeLenInByte = 304
; TotalNumSgprs: 7
; NumVgprs: 8
; ScratchSize: 0
; MemoryBound: 0
; FloatMode: 240
; IeeeMode: 1
; LDSByteSize: 3072 bytes/workgroup (compile time only)
; SGPRBlocks: 0
; VGPRBlocks: 0
; NumSGPRsForWavesPerEU: 7
; NumVGPRsForWavesPerEU: 8
; NamedBarCnt: 0
; Occupancy: 16
; WaveLimiterHint : 1
; COMPUTE_PGM_RSRC2:SCRATCH_EN: 0
; COMPUTE_PGM_RSRC2:USER_SGPR: 2
; COMPUTE_PGM_RSRC2:TRAP_HANDLER: 0
; COMPUTE_PGM_RSRC2:TGID_X_EN: 1
; COMPUTE_PGM_RSRC2:TGID_Y_EN: 0
; COMPUTE_PGM_RSRC2:TGID_Z_EN: 0
; COMPUTE_PGM_RSRC2:TIDIG_COMP_CNT: 0
	.section	.text._Z6kernelI23blocked_to_warp_stripediLj256ELj4ELj100EEvPKT0_PKjPS1_,"axG",@progbits,_Z6kernelI23blocked_to_warp_stripediLj256ELj4ELj100EEvPKT0_PKjPS1_,comdat
	.protected	_Z6kernelI23blocked_to_warp_stripediLj256ELj4ELj100EEvPKT0_PKjPS1_ ; -- Begin function _Z6kernelI23blocked_to_warp_stripediLj256ELj4ELj100EEvPKT0_PKjPS1_
	.globl	_Z6kernelI23blocked_to_warp_stripediLj256ELj4ELj100EEvPKT0_PKjPS1_
	.p2align	8
	.type	_Z6kernelI23blocked_to_warp_stripediLj256ELj4ELj100EEvPKT0_PKjPS1_,@function
_Z6kernelI23blocked_to_warp_stripediLj256ELj4ELj100EEvPKT0_PKjPS1_: ; @_Z6kernelI23blocked_to_warp_stripediLj256ELj4ELj100EEvPKT0_PKjPS1_
; %bb.0:
	s_load_b64 s[4:5], s[0:1], 0x0
	s_bfe_u32 s2, ttmp6, 0x4000c
	s_and_b32 s3, ttmp6, 15
	s_add_co_i32 s2, s2, 1
	s_getreg_b32 s6, hwreg(HW_REG_IB_STS2, 6, 4)
	s_mul_i32 s2, ttmp9, s2
	v_mbcnt_lo_u32_b32 v1, -1, 0
	s_add_co_i32 s3, s3, s2
	s_cmp_eq_u32 s6, 0
	s_cselect_b32 s2, ttmp9, s3
	s_mov_b32 s3, 0
	s_lshl_b32 s2, s2, 10
	v_and_or_b32 v6, 0xc0, v0, v1
	s_lshl_b64 s[2:3], s[2:3], 2
	s_delay_alu instid0(VALU_DEP_1)
	v_lshrrev_b16 v7, 1, v6
	s_wait_kmcnt 0x0
	s_add_nc_u64 s[4:5], s[4:5], s[2:3]
	global_load_b128 v[2:5], v0, s[4:5] scale_offset
	s_wait_xcnt 0x0
	v_lshlrev_b32_e32 v0, 2, v0
	v_and_b32_e32 v7, 0x6c, v7
	s_movk_i32 s4, 0x64
	s_delay_alu instid0(VALU_DEP_2) | instskip(NEXT) | instid1(VALU_DEP_2)
	v_and_b32_e32 v0, 0x300, v0
	v_lshl_add_u32 v6, v6, 4, v7
	s_delay_alu instid0(VALU_DEP_2) | instskip(SKIP_3) | instid1(VALU_DEP_1)
	v_dual_lshrrev_b32 v12, 3, v0 :: v_dual_bitop2_b32 v8, v1, v0 bitop3:0x54
	v_or_b32_e32 v10, 0x80, v0
	v_or_b32_e32 v11, 0xc0, v0
	v_or_b32_e32 v9, 64, v0
	v_dual_lshlrev_b32 v13, 2, v8 :: v_dual_lshrrev_b32 v8, 3, v9
	s_delay_alu instid0(VALU_DEP_3) | instskip(NEXT) | instid1(VALU_DEP_2)
	v_dual_lshrrev_b32 v9, 3, v10 :: v_dual_lshrrev_b32 v10, 3, v11
	v_add_nc_u32_e32 v7, v12, v13
	s_delay_alu instid0(VALU_DEP_2) | instskip(NEXT) | instid1(VALU_DEP_3)
	v_dual_add_nc_u32 v8, v8, v13 :: v_dual_add_nc_u32 v9, v9, v13
	v_add_nc_u32_e32 v10, v10, v13
.LBB63_1:                               ; =>This Inner Loop Header: Depth=1
	s_wait_loadcnt 0x0
	ds_store_2addr_b32 v6, v2, v3 offset1:1
	ds_store_2addr_b32 v6, v4, v5 offset0:2 offset1:3
	; wave barrier
	ds_load_b32 v2, v7
	ds_load_b32 v3, v8 offset:256
	ds_load_b32 v4, v9 offset:512
	ds_load_b32 v5, v10 offset:768
	s_add_co_i32 s4, s4, -1
	s_wait_dscnt 0x0
	s_cmp_lg_u32 s4, 0
	s_barrier_signal -1
	s_barrier_wait -1
	s_cbranch_scc1 .LBB63_1
; %bb.2:
	s_load_b64 s[0:1], s[0:1], 0x10
	v_dual_mov_b32 v7, 0 :: v_dual_lshlrev_b32 v6, 2, v1
	s_wait_kmcnt 0x0
	s_add_nc_u64 s[0:1], s[0:1], s[2:3]
	s_delay_alu instid0(VALU_DEP_1) | instid1(SALU_CYCLE_1)
	v_add_nc_u64_e32 v[8:9], s[0:1], v[6:7]
	v_lshlrev_b32_e32 v6, 2, v0
	s_delay_alu instid0(VALU_DEP_1)
	v_add_nc_u64_e32 v[0:1], v[8:9], v[6:7]
	s_clause 0x3
	global_store_b32 v[0:1], v2, off
	global_store_b32 v[0:1], v3, off offset:256
	global_store_b32 v[0:1], v4, off offset:512
	;; [unrolled: 1-line block ×3, first 2 shown]
	s_endpgm
	.section	.rodata,"a",@progbits
	.p2align	6, 0x0
	.amdhsa_kernel _Z6kernelI23blocked_to_warp_stripediLj256ELj4ELj100EEvPKT0_PKjPS1_
		.amdhsa_group_segment_fixed_size 4224
		.amdhsa_private_segment_fixed_size 0
		.amdhsa_kernarg_size 24
		.amdhsa_user_sgpr_count 2
		.amdhsa_user_sgpr_dispatch_ptr 0
		.amdhsa_user_sgpr_queue_ptr 0
		.amdhsa_user_sgpr_kernarg_segment_ptr 1
		.amdhsa_user_sgpr_dispatch_id 0
		.amdhsa_user_sgpr_kernarg_preload_length 0
		.amdhsa_user_sgpr_kernarg_preload_offset 0
		.amdhsa_user_sgpr_private_segment_size 0
		.amdhsa_wavefront_size32 1
		.amdhsa_uses_dynamic_stack 0
		.amdhsa_enable_private_segment 0
		.amdhsa_system_sgpr_workgroup_id_x 1
		.amdhsa_system_sgpr_workgroup_id_y 0
		.amdhsa_system_sgpr_workgroup_id_z 0
		.amdhsa_system_sgpr_workgroup_info 0
		.amdhsa_system_vgpr_workitem_id 0
		.amdhsa_next_free_vgpr 14
		.amdhsa_next_free_sgpr 7
		.amdhsa_named_barrier_count 0
		.amdhsa_reserve_vcc 0
		.amdhsa_float_round_mode_32 0
		.amdhsa_float_round_mode_16_64 0
		.amdhsa_float_denorm_mode_32 3
		.amdhsa_float_denorm_mode_16_64 3
		.amdhsa_fp16_overflow 0
		.amdhsa_memory_ordered 1
		.amdhsa_forward_progress 1
		.amdhsa_inst_pref_size 4
		.amdhsa_round_robin_scheduling 0
		.amdhsa_exception_fp_ieee_invalid_op 0
		.amdhsa_exception_fp_denorm_src 0
		.amdhsa_exception_fp_ieee_div_zero 0
		.amdhsa_exception_fp_ieee_overflow 0
		.amdhsa_exception_fp_ieee_underflow 0
		.amdhsa_exception_fp_ieee_inexact 0
		.amdhsa_exception_int_div_zero 0
	.end_amdhsa_kernel
	.section	.text._Z6kernelI23blocked_to_warp_stripediLj256ELj4ELj100EEvPKT0_PKjPS1_,"axG",@progbits,_Z6kernelI23blocked_to_warp_stripediLj256ELj4ELj100EEvPKT0_PKjPS1_,comdat
.Lfunc_end63:
	.size	_Z6kernelI23blocked_to_warp_stripediLj256ELj4ELj100EEvPKT0_PKjPS1_, .Lfunc_end63-_Z6kernelI23blocked_to_warp_stripediLj256ELj4ELj100EEvPKT0_PKjPS1_
                                        ; -- End function
	.set _Z6kernelI23blocked_to_warp_stripediLj256ELj4ELj100EEvPKT0_PKjPS1_.num_vgpr, 14
	.set _Z6kernelI23blocked_to_warp_stripediLj256ELj4ELj100EEvPKT0_PKjPS1_.num_agpr, 0
	.set _Z6kernelI23blocked_to_warp_stripediLj256ELj4ELj100EEvPKT0_PKjPS1_.numbered_sgpr, 7
	.set _Z6kernelI23blocked_to_warp_stripediLj256ELj4ELj100EEvPKT0_PKjPS1_.num_named_barrier, 0
	.set _Z6kernelI23blocked_to_warp_stripediLj256ELj4ELj100EEvPKT0_PKjPS1_.private_seg_size, 0
	.set _Z6kernelI23blocked_to_warp_stripediLj256ELj4ELj100EEvPKT0_PKjPS1_.uses_vcc, 0
	.set _Z6kernelI23blocked_to_warp_stripediLj256ELj4ELj100EEvPKT0_PKjPS1_.uses_flat_scratch, 0
	.set _Z6kernelI23blocked_to_warp_stripediLj256ELj4ELj100EEvPKT0_PKjPS1_.has_dyn_sized_stack, 0
	.set _Z6kernelI23blocked_to_warp_stripediLj256ELj4ELj100EEvPKT0_PKjPS1_.has_recursion, 0
	.set _Z6kernelI23blocked_to_warp_stripediLj256ELj4ELj100EEvPKT0_PKjPS1_.has_indirect_call, 0
	.section	.AMDGPU.csdata,"",@progbits
; Kernel info:
; codeLenInByte = 412
; TotalNumSgprs: 7
; NumVgprs: 14
; ScratchSize: 0
; MemoryBound: 0
; FloatMode: 240
; IeeeMode: 1
; LDSByteSize: 4224 bytes/workgroup (compile time only)
; SGPRBlocks: 0
; VGPRBlocks: 0
; NumSGPRsForWavesPerEU: 7
; NumVGPRsForWavesPerEU: 14
; NamedBarCnt: 0
; Occupancy: 16
; WaveLimiterHint : 1
; COMPUTE_PGM_RSRC2:SCRATCH_EN: 0
; COMPUTE_PGM_RSRC2:USER_SGPR: 2
; COMPUTE_PGM_RSRC2:TRAP_HANDLER: 0
; COMPUTE_PGM_RSRC2:TGID_X_EN: 1
; COMPUTE_PGM_RSRC2:TGID_Y_EN: 0
; COMPUTE_PGM_RSRC2:TGID_Z_EN: 0
; COMPUTE_PGM_RSRC2:TIDIG_COMP_CNT: 0
	.section	.text._Z6kernelI23blocked_to_warp_stripediLj256ELj7ELj100EEvPKT0_PKjPS1_,"axG",@progbits,_Z6kernelI23blocked_to_warp_stripediLj256ELj7ELj100EEvPKT0_PKjPS1_,comdat
	.protected	_Z6kernelI23blocked_to_warp_stripediLj256ELj7ELj100EEvPKT0_PKjPS1_ ; -- Begin function _Z6kernelI23blocked_to_warp_stripediLj256ELj7ELj100EEvPKT0_PKjPS1_
	.globl	_Z6kernelI23blocked_to_warp_stripediLj256ELj7ELj100EEvPKT0_PKjPS1_
	.p2align	8
	.type	_Z6kernelI23blocked_to_warp_stripediLj256ELj7ELj100EEvPKT0_PKjPS1_,@function
_Z6kernelI23blocked_to_warp_stripediLj256ELj7ELj100EEvPKT0_PKjPS1_: ; @_Z6kernelI23blocked_to_warp_stripediLj256ELj7ELj100EEvPKT0_PKjPS1_
; %bb.0:
	s_load_b64 s[4:5], s[0:1], 0x0
	s_bfe_u32 s2, ttmp6, 0x4000c
	s_and_b32 s3, ttmp6, 15
	s_add_co_i32 s2, s2, 1
	s_getreg_b32 s6, hwreg(HW_REG_IB_STS2, 6, 4)
	s_mul_i32 s2, ttmp9, s2
	v_mul_u32_u24_e32 v1, 7, v0
	s_add_co_i32 s3, s3, s2
	s_cmp_eq_u32 s6, 0
	s_cselect_b32 s2, ttmp9, s3
	s_mov_b32 s3, 0
	s_mulk_i32 s2, 0x700
	v_lshlrev_b32_e32 v1, 2, v1
	s_lshl_b64 s[2:3], s[2:3], 2
	s_wait_kmcnt 0x0
	s_add_nc_u64 s[4:5], s[4:5], s[2:3]
	s_clause 0x1
	global_load_b96 v[6:8], v1, s[4:5] offset:16
	global_load_b128 v[2:5], v1, s[4:5]
	s_wait_xcnt 0x0
	v_lshrrev_b32_e32 v1, 6, v0
	s_movk_i32 s4, 0x64
	s_delay_alu instid0(VALU_DEP_1) | instskip(SKIP_1) | instid1(VALU_DEP_2)
	v_mul_u32_u24_e32 v9, 0x1c0, v1
	v_mbcnt_lo_u32_b32 v1, -1, 0
	v_lshlrev_b32_e32 v10, 2, v9
	s_delay_alu instid0(VALU_DEP_1)
	v_mad_u32_u24 v9, v1, 28, v10
	v_lshl_or_b32 v10, v1, 2, v10
.LBB64_1:                               ; =>This Inner Loop Header: Depth=1
	s_wait_loadcnt 0x0
	ds_store_2addr_b32 v9, v2, v3 offset1:1
	ds_store_2addr_b32 v9, v4, v5 offset0:2 offset1:3
	ds_store_2addr_b32 v9, v6, v7 offset0:4 offset1:5
	ds_store_b32 v9, v8 offset:24
	; wave barrier
	ds_load_2addr_stride64_b32 v[2:3], v10 offset1:1
	ds_load_2addr_stride64_b32 v[4:5], v10 offset0:2 offset1:3
	ds_load_2addr_stride64_b32 v[6:7], v10 offset0:4 offset1:5
	ds_load_b32 v8, v10 offset:1536
	s_add_co_i32 s4, s4, -1
	s_wait_dscnt 0x0
	s_cmp_lg_u32 s4, 0
	s_barrier_signal -1
	s_barrier_wait -1
	s_cbranch_scc1 .LBB64_1
; %bb.2:
	s_load_b64 s[0:1], s[0:1], 0x10
	v_and_b32_e32 v9, 0xc0, v0
	v_dual_mov_b32 v1, 0 :: v_dual_lshlrev_b32 v0, 2, v1
	s_delay_alu instid0(VALU_DEP_2)
	v_mul_u32_u24_e32 v9, 7, v9
	s_wait_kmcnt 0x0
	s_add_nc_u64 s[0:1], s[0:1], s[2:3]
	s_delay_alu instid0(VALU_DEP_2) | instid1(SALU_CYCLE_1)
	v_add_nc_u64_e32 v[10:11], s[0:1], v[0:1]
	s_delay_alu instid0(VALU_DEP_2) | instskip(NEXT) | instid1(VALU_DEP_1)
	v_lshlrev_b32_e32 v0, 2, v9
	v_add_nc_u64_e32 v[0:1], v[10:11], v[0:1]
	s_clause 0x6
	global_store_b32 v[0:1], v2, off
	global_store_b32 v[0:1], v3, off offset:256
	global_store_b32 v[0:1], v4, off offset:512
	;; [unrolled: 1-line block ×6, first 2 shown]
	s_endpgm
	.section	.rodata,"a",@progbits
	.p2align	6, 0x0
	.amdhsa_kernel _Z6kernelI23blocked_to_warp_stripediLj256ELj7ELj100EEvPKT0_PKjPS1_
		.amdhsa_group_segment_fixed_size 7168
		.amdhsa_private_segment_fixed_size 0
		.amdhsa_kernarg_size 24
		.amdhsa_user_sgpr_count 2
		.amdhsa_user_sgpr_dispatch_ptr 0
		.amdhsa_user_sgpr_queue_ptr 0
		.amdhsa_user_sgpr_kernarg_segment_ptr 1
		.amdhsa_user_sgpr_dispatch_id 0
		.amdhsa_user_sgpr_kernarg_preload_length 0
		.amdhsa_user_sgpr_kernarg_preload_offset 0
		.amdhsa_user_sgpr_private_segment_size 0
		.amdhsa_wavefront_size32 1
		.amdhsa_uses_dynamic_stack 0
		.amdhsa_enable_private_segment 0
		.amdhsa_system_sgpr_workgroup_id_x 1
		.amdhsa_system_sgpr_workgroup_id_y 0
		.amdhsa_system_sgpr_workgroup_id_z 0
		.amdhsa_system_sgpr_workgroup_info 0
		.amdhsa_system_vgpr_workitem_id 0
		.amdhsa_next_free_vgpr 12
		.amdhsa_next_free_sgpr 7
		.amdhsa_named_barrier_count 0
		.amdhsa_reserve_vcc 0
		.amdhsa_float_round_mode_32 0
		.amdhsa_float_round_mode_16_64 0
		.amdhsa_float_denorm_mode_32 3
		.amdhsa_float_denorm_mode_16_64 3
		.amdhsa_fp16_overflow 0
		.amdhsa_memory_ordered 1
		.amdhsa_forward_progress 1
		.amdhsa_inst_pref_size 4
		.amdhsa_round_robin_scheduling 0
		.amdhsa_exception_fp_ieee_invalid_op 0
		.amdhsa_exception_fp_denorm_src 0
		.amdhsa_exception_fp_ieee_div_zero 0
		.amdhsa_exception_fp_ieee_overflow 0
		.amdhsa_exception_fp_ieee_underflow 0
		.amdhsa_exception_fp_ieee_inexact 0
		.amdhsa_exception_int_div_zero 0
	.end_amdhsa_kernel
	.section	.text._Z6kernelI23blocked_to_warp_stripediLj256ELj7ELj100EEvPKT0_PKjPS1_,"axG",@progbits,_Z6kernelI23blocked_to_warp_stripediLj256ELj7ELj100EEvPKT0_PKjPS1_,comdat
.Lfunc_end64:
	.size	_Z6kernelI23blocked_to_warp_stripediLj256ELj7ELj100EEvPKT0_PKjPS1_, .Lfunc_end64-_Z6kernelI23blocked_to_warp_stripediLj256ELj7ELj100EEvPKT0_PKjPS1_
                                        ; -- End function
	.set _Z6kernelI23blocked_to_warp_stripediLj256ELj7ELj100EEvPKT0_PKjPS1_.num_vgpr, 12
	.set _Z6kernelI23blocked_to_warp_stripediLj256ELj7ELj100EEvPKT0_PKjPS1_.num_agpr, 0
	.set _Z6kernelI23blocked_to_warp_stripediLj256ELj7ELj100EEvPKT0_PKjPS1_.numbered_sgpr, 7
	.set _Z6kernelI23blocked_to_warp_stripediLj256ELj7ELj100EEvPKT0_PKjPS1_.num_named_barrier, 0
	.set _Z6kernelI23blocked_to_warp_stripediLj256ELj7ELj100EEvPKT0_PKjPS1_.private_seg_size, 0
	.set _Z6kernelI23blocked_to_warp_stripediLj256ELj7ELj100EEvPKT0_PKjPS1_.uses_vcc, 0
	.set _Z6kernelI23blocked_to_warp_stripediLj256ELj7ELj100EEvPKT0_PKjPS1_.uses_flat_scratch, 0
	.set _Z6kernelI23blocked_to_warp_stripediLj256ELj7ELj100EEvPKT0_PKjPS1_.has_dyn_sized_stack, 0
	.set _Z6kernelI23blocked_to_warp_stripediLj256ELj7ELj100EEvPKT0_PKjPS1_.has_recursion, 0
	.set _Z6kernelI23blocked_to_warp_stripediLj256ELj7ELj100EEvPKT0_PKjPS1_.has_indirect_call, 0
	.section	.AMDGPU.csdata,"",@progbits
; Kernel info:
; codeLenInByte = 400
; TotalNumSgprs: 7
; NumVgprs: 12
; ScratchSize: 0
; MemoryBound: 0
; FloatMode: 240
; IeeeMode: 1
; LDSByteSize: 7168 bytes/workgroup (compile time only)
; SGPRBlocks: 0
; VGPRBlocks: 0
; NumSGPRsForWavesPerEU: 7
; NumVGPRsForWavesPerEU: 12
; NamedBarCnt: 0
; Occupancy: 16
; WaveLimiterHint : 1
; COMPUTE_PGM_RSRC2:SCRATCH_EN: 0
; COMPUTE_PGM_RSRC2:USER_SGPR: 2
; COMPUTE_PGM_RSRC2:TRAP_HANDLER: 0
; COMPUTE_PGM_RSRC2:TGID_X_EN: 1
; COMPUTE_PGM_RSRC2:TGID_Y_EN: 0
; COMPUTE_PGM_RSRC2:TGID_Z_EN: 0
; COMPUTE_PGM_RSRC2:TIDIG_COMP_CNT: 0
	.section	.text._Z6kernelI23blocked_to_warp_stripediLj256ELj8ELj100EEvPKT0_PKjPS1_,"axG",@progbits,_Z6kernelI23blocked_to_warp_stripediLj256ELj8ELj100EEvPKT0_PKjPS1_,comdat
	.protected	_Z6kernelI23blocked_to_warp_stripediLj256ELj8ELj100EEvPKT0_PKjPS1_ ; -- Begin function _Z6kernelI23blocked_to_warp_stripediLj256ELj8ELj100EEvPKT0_PKjPS1_
	.globl	_Z6kernelI23blocked_to_warp_stripediLj256ELj8ELj100EEvPKT0_PKjPS1_
	.p2align	8
	.type	_Z6kernelI23blocked_to_warp_stripediLj256ELj8ELj100EEvPKT0_PKjPS1_,@function
_Z6kernelI23blocked_to_warp_stripediLj256ELj8ELj100EEvPKT0_PKjPS1_: ; @_Z6kernelI23blocked_to_warp_stripediLj256ELj8ELj100EEvPKT0_PKjPS1_
; %bb.0:
	s_load_b64 s[4:5], s[0:1], 0x0
	s_bfe_u32 s2, ttmp6, 0x4000c
	s_and_b32 s3, ttmp6, 15
	s_add_co_i32 s2, s2, 1
	s_getreg_b32 s6, hwreg(HW_REG_IB_STS2, 6, 4)
	s_mul_i32 s2, ttmp9, s2
	v_dual_lshlrev_b32 v1, 5, v0 :: v_dual_lshlrev_b32 v10, 3, v0
	s_add_co_i32 s3, s3, s2
	s_cmp_eq_u32 s6, 0
	v_and_b32_e32 v11, 0xc0, v0
	s_cselect_b32 s2, ttmp9, s3
	s_mov_b32 s3, 0
	s_lshl_b32 s2, s2, 11
	v_and_b32_e32 v0, 0x600, v10
	s_lshl_b64 s[2:3], s[2:3], 2
	s_delay_alu instid0(VALU_DEP_1)
	v_or_b32_e32 v14, 0x80, v0
	s_wait_kmcnt 0x0
	s_add_nc_u64 s[4:5], s[4:5], s[2:3]
	v_or_b32_e32 v16, 0x140, v0
	s_clause 0x1
	global_load_b128 v[2:5], v1, s[4:5]
	global_load_b128 v[6:9], v1, s[4:5] offset:16
	s_wait_xcnt 0x0
	v_mbcnt_lo_u32_b32 v1, -1, 0
	v_or_b32_e32 v17, 0x180, v0
	v_or_b32_e32 v19, 0x1c0, v0
	v_lshrrev_b32_e32 v16, 3, v16
	s_delay_alu instid0(VALU_DEP_4) | instskip(SKIP_4) | instid1(VALU_DEP_3)
	v_dual_lshrrev_b32 v15, 3, v0 :: v_dual_bitop2_b32 v10, v1, v11 bitop3:0x54
	v_or_b32_e32 v12, v1, v0
	v_bitop3_b32 v11, v1, 0xdc, v11 bitop3:0xc8
	v_lshrrev_b32_e32 v17, 3, v17
	s_movk_i32 s4, 0x64
	v_lshlrev_b32_e32 v18, 2, v12
	v_or_b32_e32 v13, 64, v0
	v_lshl_add_u32 v10, v10, 5, v11
	s_delay_alu instid0(VALU_DEP_2) | instskip(SKIP_4) | instid1(VALU_DEP_4)
	v_dual_add_nc_u32 v11, v15, v18 :: v_dual_lshrrev_b32 v12, 3, v13
	v_lshrrev_b32_e32 v13, 3, v14
	v_or_b32_e32 v14, 0xc0, v0
	v_or_b32_e32 v15, 0x100, v0
	v_add_nc_u32_e32 v16, v16, v18
	v_dual_add_nc_u32 v12, v12, v18 :: v_dual_add_nc_u32 v13, v13, v18
	s_delay_alu instid0(VALU_DEP_3) | instskip(SKIP_1) | instid1(VALU_DEP_2)
	v_dual_lshrrev_b32 v14, 3, v14 :: v_dual_lshrrev_b32 v15, 3, v15
	v_dual_lshrrev_b32 v19, 3, v19 :: v_dual_add_nc_u32 v17, v17, v18
	v_dual_add_nc_u32 v14, v14, v18 :: v_dual_add_nc_u32 v15, v15, v18
	s_delay_alu instid0(VALU_DEP_2)
	v_add_nc_u32_e32 v18, v19, v18
.LBB65_1:                               ; =>This Inner Loop Header: Depth=1
	s_wait_loadcnt 0x1
	ds_store_2addr_b32 v10, v2, v3 offset1:1
	ds_store_2addr_b32 v10, v4, v5 offset0:2 offset1:3
	s_wait_loadcnt 0x0
	ds_store_2addr_b32 v10, v6, v7 offset0:4 offset1:5
	ds_store_2addr_b32 v10, v8, v9 offset0:6 offset1:7
	; wave barrier
	ds_load_b32 v2, v11
	ds_load_b32 v3, v12 offset:256
	ds_load_b32 v4, v13 offset:512
	;; [unrolled: 1-line block ×7, first 2 shown]
	s_add_co_i32 s4, s4, -1
	s_wait_dscnt 0x0
	s_cmp_lg_u32 s4, 0
	s_barrier_signal -1
	s_barrier_wait -1
	s_cbranch_scc1 .LBB65_1
; %bb.2:
	s_load_b64 s[0:1], s[0:1], 0x10
	v_dual_mov_b32 v11, 0 :: v_dual_lshlrev_b32 v10, 2, v1
	s_wait_kmcnt 0x0
	s_add_nc_u64 s[0:1], s[0:1], s[2:3]
	s_delay_alu instid0(VALU_DEP_1) | instid1(SALU_CYCLE_1)
	v_add_nc_u64_e32 v[12:13], s[0:1], v[10:11]
	v_lshlrev_b32_e32 v10, 2, v0
	s_delay_alu instid0(VALU_DEP_1)
	v_add_nc_u64_e32 v[0:1], v[12:13], v[10:11]
	s_clause 0x7
	global_store_b32 v[0:1], v2, off
	global_store_b32 v[0:1], v3, off offset:256
	global_store_b32 v[0:1], v4, off offset:512
	global_store_b32 v[0:1], v5, off offset:768
	global_store_b32 v[0:1], v6, off offset:1024
	global_store_b32 v[0:1], v7, off offset:1280
	global_store_b32 v[0:1], v8, off offset:1536
	global_store_b32 v[0:1], v9, off offset:1792
	s_endpgm
	.section	.rodata,"a",@progbits
	.p2align	6, 0x0
	.amdhsa_kernel _Z6kernelI23blocked_to_warp_stripediLj256ELj8ELj100EEvPKT0_PKjPS1_
		.amdhsa_group_segment_fixed_size 8448
		.amdhsa_private_segment_fixed_size 0
		.amdhsa_kernarg_size 24
		.amdhsa_user_sgpr_count 2
		.amdhsa_user_sgpr_dispatch_ptr 0
		.amdhsa_user_sgpr_queue_ptr 0
		.amdhsa_user_sgpr_kernarg_segment_ptr 1
		.amdhsa_user_sgpr_dispatch_id 0
		.amdhsa_user_sgpr_kernarg_preload_length 0
		.amdhsa_user_sgpr_kernarg_preload_offset 0
		.amdhsa_user_sgpr_private_segment_size 0
		.amdhsa_wavefront_size32 1
		.amdhsa_uses_dynamic_stack 0
		.amdhsa_enable_private_segment 0
		.amdhsa_system_sgpr_workgroup_id_x 1
		.amdhsa_system_sgpr_workgroup_id_y 0
		.amdhsa_system_sgpr_workgroup_id_z 0
		.amdhsa_system_sgpr_workgroup_info 0
		.amdhsa_system_vgpr_workitem_id 0
		.amdhsa_next_free_vgpr 20
		.amdhsa_next_free_sgpr 7
		.amdhsa_named_barrier_count 0
		.amdhsa_reserve_vcc 0
		.amdhsa_float_round_mode_32 0
		.amdhsa_float_round_mode_16_64 0
		.amdhsa_float_denorm_mode_32 3
		.amdhsa_float_denorm_mode_16_64 3
		.amdhsa_fp16_overflow 0
		.amdhsa_memory_ordered 1
		.amdhsa_forward_progress 1
		.amdhsa_inst_pref_size 5
		.amdhsa_round_robin_scheduling 0
		.amdhsa_exception_fp_ieee_invalid_op 0
		.amdhsa_exception_fp_denorm_src 0
		.amdhsa_exception_fp_ieee_div_zero 0
		.amdhsa_exception_fp_ieee_overflow 0
		.amdhsa_exception_fp_ieee_underflow 0
		.amdhsa_exception_fp_ieee_inexact 0
		.amdhsa_exception_int_div_zero 0
	.end_amdhsa_kernel
	.section	.text._Z6kernelI23blocked_to_warp_stripediLj256ELj8ELj100EEvPKT0_PKjPS1_,"axG",@progbits,_Z6kernelI23blocked_to_warp_stripediLj256ELj8ELj100EEvPKT0_PKjPS1_,comdat
.Lfunc_end65:
	.size	_Z6kernelI23blocked_to_warp_stripediLj256ELj8ELj100EEvPKT0_PKjPS1_, .Lfunc_end65-_Z6kernelI23blocked_to_warp_stripediLj256ELj8ELj100EEvPKT0_PKjPS1_
                                        ; -- End function
	.set _Z6kernelI23blocked_to_warp_stripediLj256ELj8ELj100EEvPKT0_PKjPS1_.num_vgpr, 20
	.set _Z6kernelI23blocked_to_warp_stripediLj256ELj8ELj100EEvPKT0_PKjPS1_.num_agpr, 0
	.set _Z6kernelI23blocked_to_warp_stripediLj256ELj8ELj100EEvPKT0_PKjPS1_.numbered_sgpr, 7
	.set _Z6kernelI23blocked_to_warp_stripediLj256ELj8ELj100EEvPKT0_PKjPS1_.num_named_barrier, 0
	.set _Z6kernelI23blocked_to_warp_stripediLj256ELj8ELj100EEvPKT0_PKjPS1_.private_seg_size, 0
	.set _Z6kernelI23blocked_to_warp_stripediLj256ELj8ELj100EEvPKT0_PKjPS1_.uses_vcc, 0
	.set _Z6kernelI23blocked_to_warp_stripediLj256ELj8ELj100EEvPKT0_PKjPS1_.uses_flat_scratch, 0
	.set _Z6kernelI23blocked_to_warp_stripediLj256ELj8ELj100EEvPKT0_PKjPS1_.has_dyn_sized_stack, 0
	.set _Z6kernelI23blocked_to_warp_stripediLj256ELj8ELj100EEvPKT0_PKjPS1_.has_recursion, 0
	.set _Z6kernelI23blocked_to_warp_stripediLj256ELj8ELj100EEvPKT0_PKjPS1_.has_indirect_call, 0
	.section	.AMDGPU.csdata,"",@progbits
; Kernel info:
; codeLenInByte = 604
; TotalNumSgprs: 7
; NumVgprs: 20
; ScratchSize: 0
; MemoryBound: 0
; FloatMode: 240
; IeeeMode: 1
; LDSByteSize: 8448 bytes/workgroup (compile time only)
; SGPRBlocks: 0
; VGPRBlocks: 1
; NumSGPRsForWavesPerEU: 7
; NumVGPRsForWavesPerEU: 20
; NamedBarCnt: 0
; Occupancy: 16
; WaveLimiterHint : 1
; COMPUTE_PGM_RSRC2:SCRATCH_EN: 0
; COMPUTE_PGM_RSRC2:USER_SGPR: 2
; COMPUTE_PGM_RSRC2:TRAP_HANDLER: 0
; COMPUTE_PGM_RSRC2:TGID_X_EN: 1
; COMPUTE_PGM_RSRC2:TGID_Y_EN: 0
; COMPUTE_PGM_RSRC2:TGID_Z_EN: 0
; COMPUTE_PGM_RSRC2:TIDIG_COMP_CNT: 0
	.section	.text._Z6kernelI23blocked_to_warp_stripedaLj256ELj1ELj100EEvPKT0_PKjPS1_,"axG",@progbits,_Z6kernelI23blocked_to_warp_stripedaLj256ELj1ELj100EEvPKT0_PKjPS1_,comdat
	.protected	_Z6kernelI23blocked_to_warp_stripedaLj256ELj1ELj100EEvPKT0_PKjPS1_ ; -- Begin function _Z6kernelI23blocked_to_warp_stripedaLj256ELj1ELj100EEvPKT0_PKjPS1_
	.globl	_Z6kernelI23blocked_to_warp_stripedaLj256ELj1ELj100EEvPKT0_PKjPS1_
	.p2align	8
	.type	_Z6kernelI23blocked_to_warp_stripedaLj256ELj1ELj100EEvPKT0_PKjPS1_,@function
_Z6kernelI23blocked_to_warp_stripedaLj256ELj1ELj100EEvPKT0_PKjPS1_: ; @_Z6kernelI23blocked_to_warp_stripedaLj256ELj1ELj100EEvPKT0_PKjPS1_
; %bb.0:
	s_load_b64 s[4:5], s[0:1], 0x0
	s_bfe_u32 s2, ttmp6, 0x4000c
	s_and_b32 s3, ttmp6, 15
	s_add_co_i32 s2, s2, 1
	s_getreg_b32 s6, hwreg(HW_REG_IB_STS2, 6, 4)
	s_mul_i32 s2, ttmp9, s2
	v_mbcnt_lo_u32_b32 v2, -1, 0
	s_add_co_i32 s3, s3, s2
	s_cmp_eq_u32 s6, 0
	s_cselect_b32 s2, ttmp9, s3
	s_mov_b32 s3, 0
	s_lshl_b32 s2, s2, 8
	s_wait_kmcnt 0x0
	s_add_nc_u64 s[4:5], s[4:5], s[2:3]
	global_load_u8 v4, v0, s[4:5]
	s_wait_xcnt 0x0
	v_and_b32_e32 v0, 0xc0, v0
	s_movk_i32 s4, 0x64
	s_delay_alu instid0(VALU_DEP_1)
	v_add_nc_u32_e32 v1, v2, v0
.LBB66_1:                               ; =>This Inner Loop Header: Depth=1
	s_wait_loadcnt 0x0
	ds_store_b8 v1, v4
	; wave barrier
	ds_load_u8 v4, v1
	s_add_co_i32 s4, s4, -1
	s_wait_dscnt 0x0
	s_cmp_lg_u32 s4, 0
	s_barrier_signal -1
	s_barrier_wait -1
	s_cbranch_scc1 .LBB66_1
; %bb.2:
	s_load_b64 s[0:1], s[0:1], 0x10
	v_mov_b32_e32 v3, 0
	s_delay_alu instid0(VALU_DEP_1) | instskip(SKIP_2) | instid1(SALU_CYCLE_1)
	v_mov_b32_e32 v1, v3
	s_wait_kmcnt 0x0
	s_add_nc_u64 s[0:1], s[0:1], s[2:3]
	v_add_nc_u64_e32 v[6:7], s[0:1], v[2:3]
	s_delay_alu instid0(VALU_DEP_1)
	v_add_nc_u64_e32 v[0:1], v[6:7], v[0:1]
	global_store_b8 v[0:1], v4, off
	s_endpgm
	.section	.rodata,"a",@progbits
	.p2align	6, 0x0
	.amdhsa_kernel _Z6kernelI23blocked_to_warp_stripedaLj256ELj1ELj100EEvPKT0_PKjPS1_
		.amdhsa_group_segment_fixed_size 256
		.amdhsa_private_segment_fixed_size 0
		.amdhsa_kernarg_size 24
		.amdhsa_user_sgpr_count 2
		.amdhsa_user_sgpr_dispatch_ptr 0
		.amdhsa_user_sgpr_queue_ptr 0
		.amdhsa_user_sgpr_kernarg_segment_ptr 1
		.amdhsa_user_sgpr_dispatch_id 0
		.amdhsa_user_sgpr_kernarg_preload_length 0
		.amdhsa_user_sgpr_kernarg_preload_offset 0
		.amdhsa_user_sgpr_private_segment_size 0
		.amdhsa_wavefront_size32 1
		.amdhsa_uses_dynamic_stack 0
		.amdhsa_enable_private_segment 0
		.amdhsa_system_sgpr_workgroup_id_x 1
		.amdhsa_system_sgpr_workgroup_id_y 0
		.amdhsa_system_sgpr_workgroup_id_z 0
		.amdhsa_system_sgpr_workgroup_info 0
		.amdhsa_system_vgpr_workitem_id 0
		.amdhsa_next_free_vgpr 8
		.amdhsa_next_free_sgpr 7
		.amdhsa_named_barrier_count 0
		.amdhsa_reserve_vcc 0
		.amdhsa_float_round_mode_32 0
		.amdhsa_float_round_mode_16_64 0
		.amdhsa_float_denorm_mode_32 3
		.amdhsa_float_denorm_mode_16_64 3
		.amdhsa_fp16_overflow 0
		.amdhsa_memory_ordered 1
		.amdhsa_forward_progress 1
		.amdhsa_inst_pref_size 2
		.amdhsa_round_robin_scheduling 0
		.amdhsa_exception_fp_ieee_invalid_op 0
		.amdhsa_exception_fp_denorm_src 0
		.amdhsa_exception_fp_ieee_div_zero 0
		.amdhsa_exception_fp_ieee_overflow 0
		.amdhsa_exception_fp_ieee_underflow 0
		.amdhsa_exception_fp_ieee_inexact 0
		.amdhsa_exception_int_div_zero 0
	.end_amdhsa_kernel
	.section	.text._Z6kernelI23blocked_to_warp_stripedaLj256ELj1ELj100EEvPKT0_PKjPS1_,"axG",@progbits,_Z6kernelI23blocked_to_warp_stripedaLj256ELj1ELj100EEvPKT0_PKjPS1_,comdat
.Lfunc_end66:
	.size	_Z6kernelI23blocked_to_warp_stripedaLj256ELj1ELj100EEvPKT0_PKjPS1_, .Lfunc_end66-_Z6kernelI23blocked_to_warp_stripedaLj256ELj1ELj100EEvPKT0_PKjPS1_
                                        ; -- End function
	.set _Z6kernelI23blocked_to_warp_stripedaLj256ELj1ELj100EEvPKT0_PKjPS1_.num_vgpr, 8
	.set _Z6kernelI23blocked_to_warp_stripedaLj256ELj1ELj100EEvPKT0_PKjPS1_.num_agpr, 0
	.set _Z6kernelI23blocked_to_warp_stripedaLj256ELj1ELj100EEvPKT0_PKjPS1_.numbered_sgpr, 7
	.set _Z6kernelI23blocked_to_warp_stripedaLj256ELj1ELj100EEvPKT0_PKjPS1_.num_named_barrier, 0
	.set _Z6kernelI23blocked_to_warp_stripedaLj256ELj1ELj100EEvPKT0_PKjPS1_.private_seg_size, 0
	.set _Z6kernelI23blocked_to_warp_stripedaLj256ELj1ELj100EEvPKT0_PKjPS1_.uses_vcc, 0
	.set _Z6kernelI23blocked_to_warp_stripedaLj256ELj1ELj100EEvPKT0_PKjPS1_.uses_flat_scratch, 0
	.set _Z6kernelI23blocked_to_warp_stripedaLj256ELj1ELj100EEvPKT0_PKjPS1_.has_dyn_sized_stack, 0
	.set _Z6kernelI23blocked_to_warp_stripedaLj256ELj1ELj100EEvPKT0_PKjPS1_.has_recursion, 0
	.set _Z6kernelI23blocked_to_warp_stripedaLj256ELj1ELj100EEvPKT0_PKjPS1_.has_indirect_call, 0
	.section	.AMDGPU.csdata,"",@progbits
; Kernel info:
; codeLenInByte = 204
; TotalNumSgprs: 7
; NumVgprs: 8
; ScratchSize: 0
; MemoryBound: 0
; FloatMode: 240
; IeeeMode: 1
; LDSByteSize: 256 bytes/workgroup (compile time only)
; SGPRBlocks: 0
; VGPRBlocks: 0
; NumSGPRsForWavesPerEU: 7
; NumVGPRsForWavesPerEU: 8
; NamedBarCnt: 0
; Occupancy: 16
; WaveLimiterHint : 0
; COMPUTE_PGM_RSRC2:SCRATCH_EN: 0
; COMPUTE_PGM_RSRC2:USER_SGPR: 2
; COMPUTE_PGM_RSRC2:TRAP_HANDLER: 0
; COMPUTE_PGM_RSRC2:TGID_X_EN: 1
; COMPUTE_PGM_RSRC2:TGID_Y_EN: 0
; COMPUTE_PGM_RSRC2:TGID_Z_EN: 0
; COMPUTE_PGM_RSRC2:TIDIG_COMP_CNT: 0
	.section	.text._Z6kernelI23blocked_to_warp_stripedaLj256ELj2ELj100EEvPKT0_PKjPS1_,"axG",@progbits,_Z6kernelI23blocked_to_warp_stripedaLj256ELj2ELj100EEvPKT0_PKjPS1_,comdat
	.protected	_Z6kernelI23blocked_to_warp_stripedaLj256ELj2ELj100EEvPKT0_PKjPS1_ ; -- Begin function _Z6kernelI23blocked_to_warp_stripedaLj256ELj2ELj100EEvPKT0_PKjPS1_
	.globl	_Z6kernelI23blocked_to_warp_stripedaLj256ELj2ELj100EEvPKT0_PKjPS1_
	.p2align	8
	.type	_Z6kernelI23blocked_to_warp_stripedaLj256ELj2ELj100EEvPKT0_PKjPS1_,@function
_Z6kernelI23blocked_to_warp_stripedaLj256ELj2ELj100EEvPKT0_PKjPS1_: ; @_Z6kernelI23blocked_to_warp_stripedaLj256ELj2ELj100EEvPKT0_PKjPS1_
; %bb.0:
	s_load_b64 s[4:5], s[0:1], 0x0
	s_bfe_u32 s2, ttmp6, 0x4000c
	s_and_b32 s3, ttmp6, 15
	s_add_co_i32 s2, s2, 1
	s_getreg_b32 s6, hwreg(HW_REG_IB_STS2, 6, 4)
	s_mul_i32 s2, ttmp9, s2
	v_mbcnt_lo_u32_b32 v2, -1, 0
	s_add_co_i32 s3, s3, s2
	s_cmp_eq_u32 s6, 0
	v_and_b32_e32 v3, 0xc0, v0
	s_cselect_b32 s2, ttmp9, s3
	s_mov_b32 s3, 0
	s_lshl_b32 s2, s2, 9
	s_delay_alu instid0(VALU_DEP_1) | instskip(NEXT) | instid1(VALU_DEP_1)
	v_dual_lshrrev_b32 v3, 4, v3 :: v_dual_bitop2_b32 v4, v2, v3 bitop3:0x54
	v_lshlrev_b32_e32 v4, 1, v4
	s_wait_kmcnt 0x0
	s_add_nc_u64 s[4:5], s[4:5], s[2:3]
	global_load_u16 v1, v0, s[4:5] scale_offset
	s_wait_xcnt 0x0
	v_lshlrev_b32_e32 v0, 1, v0
	s_movk_i32 s4, 0x64
	s_delay_alu instid0(VALU_DEP_1) | instskip(NEXT) | instid1(VALU_DEP_1)
	v_and_b32_e32 v0, 0x180, v0
	v_dual_lshrrev_b32 v6, 5, v0 :: v_dual_bitop2_b32 v5, v2, v0 bitop3:0x54
	s_delay_alu instid0(VALU_DEP_1)
	v_dual_add_nc_u32 v3, v3, v4 :: v_dual_add_nc_u32 v6, v6, v5
.LBB67_1:                               ; =>This Inner Loop Header: Depth=1
	s_wait_loadcnt 0x0
	ds_store_b16 v3, v1
	; wave barrier
	ds_load_u8 v4, v6
	ds_load_u8 v5, v6 offset:64
	s_add_co_i32 s4, s4, -1
	s_wait_dscnt 0x0
	s_cmp_lg_u32 s4, 0
	s_barrier_signal -1
	s_barrier_wait -1
	v_perm_b32 v1, v4, v5, 0xc0c0004
	s_cbranch_scc1 .LBB67_1
; %bb.2:
	s_load_b64 s[0:1], s[0:1], 0x10
	v_mov_b32_e32 v3, 0
	s_delay_alu instid0(VALU_DEP_1) | instskip(SKIP_2) | instid1(SALU_CYCLE_1)
	v_mov_b32_e32 v1, v3
	s_wait_kmcnt 0x0
	s_add_nc_u64 s[0:1], s[0:1], s[2:3]
	v_add_nc_u64_e32 v[6:7], s[0:1], v[2:3]
	s_delay_alu instid0(VALU_DEP_1)
	v_add_nc_u64_e32 v[0:1], v[6:7], v[0:1]
	s_clause 0x1
	global_store_b8 v[0:1], v4, off
	global_store_b8 v[0:1], v5, off offset:64
	s_endpgm
	.section	.rodata,"a",@progbits
	.p2align	6, 0x0
	.amdhsa_kernel _Z6kernelI23blocked_to_warp_stripedaLj256ELj2ELj100EEvPKT0_PKjPS1_
		.amdhsa_group_segment_fixed_size 528
		.amdhsa_private_segment_fixed_size 0
		.amdhsa_kernarg_size 24
		.amdhsa_user_sgpr_count 2
		.amdhsa_user_sgpr_dispatch_ptr 0
		.amdhsa_user_sgpr_queue_ptr 0
		.amdhsa_user_sgpr_kernarg_segment_ptr 1
		.amdhsa_user_sgpr_dispatch_id 0
		.amdhsa_user_sgpr_kernarg_preload_length 0
		.amdhsa_user_sgpr_kernarg_preload_offset 0
		.amdhsa_user_sgpr_private_segment_size 0
		.amdhsa_wavefront_size32 1
		.amdhsa_uses_dynamic_stack 0
		.amdhsa_enable_private_segment 0
		.amdhsa_system_sgpr_workgroup_id_x 1
		.amdhsa_system_sgpr_workgroup_id_y 0
		.amdhsa_system_sgpr_workgroup_id_z 0
		.amdhsa_system_sgpr_workgroup_info 0
		.amdhsa_system_vgpr_workitem_id 0
		.amdhsa_next_free_vgpr 8
		.amdhsa_next_free_sgpr 7
		.amdhsa_named_barrier_count 0
		.amdhsa_reserve_vcc 0
		.amdhsa_float_round_mode_32 0
		.amdhsa_float_round_mode_16_64 0
		.amdhsa_float_denorm_mode_32 3
		.amdhsa_float_denorm_mode_16_64 3
		.amdhsa_fp16_overflow 0
		.amdhsa_memory_ordered 1
		.amdhsa_forward_progress 1
		.amdhsa_inst_pref_size 3
		.amdhsa_round_robin_scheduling 0
		.amdhsa_exception_fp_ieee_invalid_op 0
		.amdhsa_exception_fp_denorm_src 0
		.amdhsa_exception_fp_ieee_div_zero 0
		.amdhsa_exception_fp_ieee_overflow 0
		.amdhsa_exception_fp_ieee_underflow 0
		.amdhsa_exception_fp_ieee_inexact 0
		.amdhsa_exception_int_div_zero 0
	.end_amdhsa_kernel
	.section	.text._Z6kernelI23blocked_to_warp_stripedaLj256ELj2ELj100EEvPKT0_PKjPS1_,"axG",@progbits,_Z6kernelI23blocked_to_warp_stripedaLj256ELj2ELj100EEvPKT0_PKjPS1_,comdat
.Lfunc_end67:
	.size	_Z6kernelI23blocked_to_warp_stripedaLj256ELj2ELj100EEvPKT0_PKjPS1_, .Lfunc_end67-_Z6kernelI23blocked_to_warp_stripedaLj256ELj2ELj100EEvPKT0_PKjPS1_
                                        ; -- End function
	.set _Z6kernelI23blocked_to_warp_stripedaLj256ELj2ELj100EEvPKT0_PKjPS1_.num_vgpr, 8
	.set _Z6kernelI23blocked_to_warp_stripedaLj256ELj2ELj100EEvPKT0_PKjPS1_.num_agpr, 0
	.set _Z6kernelI23blocked_to_warp_stripedaLj256ELj2ELj100EEvPKT0_PKjPS1_.numbered_sgpr, 7
	.set _Z6kernelI23blocked_to_warp_stripedaLj256ELj2ELj100EEvPKT0_PKjPS1_.num_named_barrier, 0
	.set _Z6kernelI23blocked_to_warp_stripedaLj256ELj2ELj100EEvPKT0_PKjPS1_.private_seg_size, 0
	.set _Z6kernelI23blocked_to_warp_stripedaLj256ELj2ELj100EEvPKT0_PKjPS1_.uses_vcc, 0
	.set _Z6kernelI23blocked_to_warp_stripedaLj256ELj2ELj100EEvPKT0_PKjPS1_.uses_flat_scratch, 0
	.set _Z6kernelI23blocked_to_warp_stripedaLj256ELj2ELj100EEvPKT0_PKjPS1_.has_dyn_sized_stack, 0
	.set _Z6kernelI23blocked_to_warp_stripedaLj256ELj2ELj100EEvPKT0_PKjPS1_.has_recursion, 0
	.set _Z6kernelI23blocked_to_warp_stripedaLj256ELj2ELj100EEvPKT0_PKjPS1_.has_indirect_call, 0
	.section	.AMDGPU.csdata,"",@progbits
; Kernel info:
; codeLenInByte = 296
; TotalNumSgprs: 7
; NumVgprs: 8
; ScratchSize: 0
; MemoryBound: 0
; FloatMode: 240
; IeeeMode: 1
; LDSByteSize: 528 bytes/workgroup (compile time only)
; SGPRBlocks: 0
; VGPRBlocks: 0
; NumSGPRsForWavesPerEU: 7
; NumVGPRsForWavesPerEU: 8
; NamedBarCnt: 0
; Occupancy: 16
; WaveLimiterHint : 0
; COMPUTE_PGM_RSRC2:SCRATCH_EN: 0
; COMPUTE_PGM_RSRC2:USER_SGPR: 2
; COMPUTE_PGM_RSRC2:TRAP_HANDLER: 0
; COMPUTE_PGM_RSRC2:TGID_X_EN: 1
; COMPUTE_PGM_RSRC2:TGID_Y_EN: 0
; COMPUTE_PGM_RSRC2:TGID_Z_EN: 0
; COMPUTE_PGM_RSRC2:TIDIG_COMP_CNT: 0
	.section	.text._Z6kernelI23blocked_to_warp_stripedaLj256ELj3ELj100EEvPKT0_PKjPS1_,"axG",@progbits,_Z6kernelI23blocked_to_warp_stripedaLj256ELj3ELj100EEvPKT0_PKjPS1_,comdat
	.protected	_Z6kernelI23blocked_to_warp_stripedaLj256ELj3ELj100EEvPKT0_PKjPS1_ ; -- Begin function _Z6kernelI23blocked_to_warp_stripedaLj256ELj3ELj100EEvPKT0_PKjPS1_
	.globl	_Z6kernelI23blocked_to_warp_stripedaLj256ELj3ELj100EEvPKT0_PKjPS1_
	.p2align	8
	.type	_Z6kernelI23blocked_to_warp_stripedaLj256ELj3ELj100EEvPKT0_PKjPS1_,@function
_Z6kernelI23blocked_to_warp_stripedaLj256ELj3ELj100EEvPKT0_PKjPS1_: ; @_Z6kernelI23blocked_to_warp_stripedaLj256ELj3ELj100EEvPKT0_PKjPS1_
; %bb.0:
	s_load_b64 s[4:5], s[0:1], 0x0
	s_bfe_u32 s2, ttmp6, 0x4000c
	s_and_b32 s3, ttmp6, 15
	s_add_co_i32 s2, s2, 1
	s_getreg_b32 s6, hwreg(HW_REG_IB_STS2, 6, 4)
	s_mul_i32 s2, ttmp9, s2
	v_mul_u32_u24_e32 v1, 3, v0
	s_add_co_i32 s2, s3, s2
	s_cmp_eq_u32 s6, 0
	s_mov_b32 s3, 0
	s_cselect_b32 s2, ttmp9, s2
	v_mbcnt_lo_u32_b32 v2, -1, 0
	s_mulk_i32 s2, 0x300
	v_lshrrev_b32_e32 v5, 6, v0
	s_delay_alu instid0(VALU_DEP_1)
	v_mul_u32_u24_e32 v5, 0xc0, v5
	s_wait_kmcnt 0x0
	s_add_nc_u64 s[4:5], s[4:5], s[2:3]
	s_clause 0x1
	global_load_u16 v3, v1, s[4:5]
	global_load_u8 v4, v1, s[4:5] offset:2
	s_wait_xcnt 0x0
	s_movk_i32 s4, 0x64
	s_wait_loadcnt 0x1
	v_lshrrev_b32_e32 v1, 8, v3
	s_delay_alu instid0(VALU_DEP_1) | instskip(NEXT) | instid1(VALU_DEP_1)
	v_lshlrev_b16 v1, 8, v1
	v_bitop3_b16 v1, v3, v1, 0xff bitop3:0xec
	v_mul_u32_u24_e32 v3, 3, v2
	s_delay_alu instid0(VALU_DEP_2) | instskip(NEXT) | instid1(VALU_DEP_2)
	v_and_b32_e32 v6, 0xffff, v1
	v_dual_add_nc_u32 v1, v3, v5 :: v_dual_add_nc_u32 v3, v2, v5
	s_wait_loadcnt 0x0
	s_delay_alu instid0(VALU_DEP_2)
	v_lshl_or_b32 v7, v4, 16, v6
.LBB68_1:                               ; =>This Inner Loop Header: Depth=1
	s_delay_alu instid0(VALU_DEP_1)
	v_lshrrev_b32_e32 v4, 8, v7
	s_add_co_i32 s4, s4, -1
	ds_store_b8 v1, v7
	ds_store_b8 v1, v4 offset:1
	ds_store_b8_d16_hi v1, v7 offset:2
	; wave barrier
	ds_load_u8 v4, v3
	ds_load_u8 v5, v3 offset:64
	ds_load_u8 v6, v3 offset:128
	s_cmp_lg_u32 s4, 0
	s_wait_dscnt 0x0
	s_barrier_signal -1
	s_barrier_wait -1
	v_perm_b32 v7, v4, v5, 0xc0c0004
	v_lshlrev_b32_e32 v8, 16, v6
	s_delay_alu instid0(VALU_DEP_1)
	v_or_b32_e32 v7, v7, v8
	s_cbranch_scc1 .LBB68_1
; %bb.2:
	s_load_b64 s[0:1], s[0:1], 0x10
	v_mov_b32_e32 v3, 0
	v_and_b32_e32 v7, 0xc0, v0
	s_wait_kmcnt 0x0
	s_add_nc_u64 s[0:1], s[0:1], s[2:3]
	s_delay_alu instid0(VALU_DEP_2) | instid1(SALU_CYCLE_1)
	v_add_nc_u64_e32 v[0:1], s[0:1], v[2:3]
	s_delay_alu instid0(VALU_DEP_2) | instskip(NEXT) | instid1(VALU_DEP_1)
	v_mul_u32_u24_e32 v2, 3, v7
	v_add_nc_u64_e32 v[0:1], v[0:1], v[2:3]
	s_clause 0x2
	global_store_b8 v[0:1], v4, off
	global_store_b8 v[0:1], v5, off offset:64
	global_store_b8 v[0:1], v6, off offset:128
	s_endpgm
	.section	.rodata,"a",@progbits
	.p2align	6, 0x0
	.amdhsa_kernel _Z6kernelI23blocked_to_warp_stripedaLj256ELj3ELj100EEvPKT0_PKjPS1_
		.amdhsa_group_segment_fixed_size 768
		.amdhsa_private_segment_fixed_size 0
		.amdhsa_kernarg_size 24
		.amdhsa_user_sgpr_count 2
		.amdhsa_user_sgpr_dispatch_ptr 0
		.amdhsa_user_sgpr_queue_ptr 0
		.amdhsa_user_sgpr_kernarg_segment_ptr 1
		.amdhsa_user_sgpr_dispatch_id 0
		.amdhsa_user_sgpr_kernarg_preload_length 0
		.amdhsa_user_sgpr_kernarg_preload_offset 0
		.amdhsa_user_sgpr_private_segment_size 0
		.amdhsa_wavefront_size32 1
		.amdhsa_uses_dynamic_stack 0
		.amdhsa_enable_private_segment 0
		.amdhsa_system_sgpr_workgroup_id_x 1
		.amdhsa_system_sgpr_workgroup_id_y 0
		.amdhsa_system_sgpr_workgroup_id_z 0
		.amdhsa_system_sgpr_workgroup_info 0
		.amdhsa_system_vgpr_workitem_id 0
		.amdhsa_next_free_vgpr 9
		.amdhsa_next_free_sgpr 7
		.amdhsa_named_barrier_count 0
		.amdhsa_reserve_vcc 0
		.amdhsa_float_round_mode_32 0
		.amdhsa_float_round_mode_16_64 0
		.amdhsa_float_denorm_mode_32 3
		.amdhsa_float_denorm_mode_16_64 3
		.amdhsa_fp16_overflow 0
		.amdhsa_memory_ordered 1
		.amdhsa_forward_progress 1
		.amdhsa_inst_pref_size 4
		.amdhsa_round_robin_scheduling 0
		.amdhsa_exception_fp_ieee_invalid_op 0
		.amdhsa_exception_fp_denorm_src 0
		.amdhsa_exception_fp_ieee_div_zero 0
		.amdhsa_exception_fp_ieee_overflow 0
		.amdhsa_exception_fp_ieee_underflow 0
		.amdhsa_exception_fp_ieee_inexact 0
		.amdhsa_exception_int_div_zero 0
	.end_amdhsa_kernel
	.section	.text._Z6kernelI23blocked_to_warp_stripedaLj256ELj3ELj100EEvPKT0_PKjPS1_,"axG",@progbits,_Z6kernelI23blocked_to_warp_stripedaLj256ELj3ELj100EEvPKT0_PKjPS1_,comdat
.Lfunc_end68:
	.size	_Z6kernelI23blocked_to_warp_stripedaLj256ELj3ELj100EEvPKT0_PKjPS1_, .Lfunc_end68-_Z6kernelI23blocked_to_warp_stripedaLj256ELj3ELj100EEvPKT0_PKjPS1_
                                        ; -- End function
	.set _Z6kernelI23blocked_to_warp_stripedaLj256ELj3ELj100EEvPKT0_PKjPS1_.num_vgpr, 9
	.set _Z6kernelI23blocked_to_warp_stripedaLj256ELj3ELj100EEvPKT0_PKjPS1_.num_agpr, 0
	.set _Z6kernelI23blocked_to_warp_stripedaLj256ELj3ELj100EEvPKT0_PKjPS1_.numbered_sgpr, 7
	.set _Z6kernelI23blocked_to_warp_stripedaLj256ELj3ELj100EEvPKT0_PKjPS1_.num_named_barrier, 0
	.set _Z6kernelI23blocked_to_warp_stripedaLj256ELj3ELj100EEvPKT0_PKjPS1_.private_seg_size, 0
	.set _Z6kernelI23blocked_to_warp_stripedaLj256ELj3ELj100EEvPKT0_PKjPS1_.uses_vcc, 0
	.set _Z6kernelI23blocked_to_warp_stripedaLj256ELj3ELj100EEvPKT0_PKjPS1_.uses_flat_scratch, 0
	.set _Z6kernelI23blocked_to_warp_stripedaLj256ELj3ELj100EEvPKT0_PKjPS1_.has_dyn_sized_stack, 0
	.set _Z6kernelI23blocked_to_warp_stripedaLj256ELj3ELj100EEvPKT0_PKjPS1_.has_recursion, 0
	.set _Z6kernelI23blocked_to_warp_stripedaLj256ELj3ELj100EEvPKT0_PKjPS1_.has_indirect_call, 0
	.section	.AMDGPU.csdata,"",@progbits
; Kernel info:
; codeLenInByte = 396
; TotalNumSgprs: 7
; NumVgprs: 9
; ScratchSize: 0
; MemoryBound: 0
; FloatMode: 240
; IeeeMode: 1
; LDSByteSize: 768 bytes/workgroup (compile time only)
; SGPRBlocks: 0
; VGPRBlocks: 0
; NumSGPRsForWavesPerEU: 7
; NumVGPRsForWavesPerEU: 9
; NamedBarCnt: 0
; Occupancy: 16
; WaveLimiterHint : 0
; COMPUTE_PGM_RSRC2:SCRATCH_EN: 0
; COMPUTE_PGM_RSRC2:USER_SGPR: 2
; COMPUTE_PGM_RSRC2:TRAP_HANDLER: 0
; COMPUTE_PGM_RSRC2:TGID_X_EN: 1
; COMPUTE_PGM_RSRC2:TGID_Y_EN: 0
; COMPUTE_PGM_RSRC2:TGID_Z_EN: 0
; COMPUTE_PGM_RSRC2:TIDIG_COMP_CNT: 0
	.section	.text._Z6kernelI23blocked_to_warp_stripedaLj256ELj4ELj100EEvPKT0_PKjPS1_,"axG",@progbits,_Z6kernelI23blocked_to_warp_stripedaLj256ELj4ELj100EEvPKT0_PKjPS1_,comdat
	.protected	_Z6kernelI23blocked_to_warp_stripedaLj256ELj4ELj100EEvPKT0_PKjPS1_ ; -- Begin function _Z6kernelI23blocked_to_warp_stripedaLj256ELj4ELj100EEvPKT0_PKjPS1_
	.globl	_Z6kernelI23blocked_to_warp_stripedaLj256ELj4ELj100EEvPKT0_PKjPS1_
	.p2align	8
	.type	_Z6kernelI23blocked_to_warp_stripedaLj256ELj4ELj100EEvPKT0_PKjPS1_,@function
_Z6kernelI23blocked_to_warp_stripedaLj256ELj4ELj100EEvPKT0_PKjPS1_: ; @_Z6kernelI23blocked_to_warp_stripedaLj256ELj4ELj100EEvPKT0_PKjPS1_
; %bb.0:
	s_load_b64 s[4:5], s[0:1], 0x0
	s_bfe_u32 s2, ttmp6, 0x4000c
	s_and_b32 s3, ttmp6, 15
	s_add_co_i32 s2, s2, 1
	s_getreg_b32 s6, hwreg(HW_REG_IB_STS2, 6, 4)
	s_mul_i32 s2, ttmp9, s2
	v_mbcnt_lo_u32_b32 v2, -1, 0
	s_add_co_i32 s3, s3, s2
	s_cmp_eq_u32 s6, 0
	v_lshlrev_b32_e32 v3, 2, v0
	s_cselect_b32 s2, ttmp9, s3
	s_mov_b32 s3, 0
	s_lshl_b32 s2, s2, 10
	v_and_b32_e32 v4, 0xc0, v0
	s_wait_kmcnt 0x0
	s_add_nc_u64 s[4:5], s[4:5], s[2:3]
	global_load_b32 v1, v0, s[4:5] scale_offset
	s_wait_xcnt 0x0
	v_and_b32_e32 v0, 0x300, v3
	v_dual_lshrrev_b32 v4, 3, v4 :: v_dual_bitop2_b32 v3, v2, v4 bitop3:0x54
	s_movk_i32 s4, 0x64
	s_delay_alu instid0(VALU_DEP_2) | instskip(NEXT) | instid1(VALU_DEP_2)
	v_or_b32_e32 v5, 0x80, v0
	v_dual_lshlrev_b32 v3, 2, v3 :: v_dual_lshrrev_b32 v7, 5, v0
	s_delay_alu instid0(VALU_DEP_2) | instskip(NEXT) | instid1(VALU_DEP_1)
	v_dual_lshrrev_b32 v5, 5, v5 :: v_dual_bitop2_b32 v6, v2, v0 bitop3:0x54
	v_dual_add_nc_u32 v3, v4, v3 :: v_dual_add_nc_u32 v4, v7, v6
	s_delay_alu instid0(VALU_DEP_2)
	v_add_nc_u32_e32 v9, v5, v6
.LBB69_1:                               ; =>This Inner Loop Header: Depth=1
	s_wait_loadcnt 0x0
	ds_store_b32 v3, v1
	; wave barrier
	ds_load_u8 v5, v4
	ds_load_u8 v6, v4 offset:64
	ds_load_u8 v7, v9 offset:128
	;; [unrolled: 1-line block ×3, first 2 shown]
	s_add_co_i32 s4, s4, -1
	s_wait_dscnt 0x0
	s_cmp_lg_u32 s4, 0
	s_barrier_signal -1
	s_barrier_wait -1
	v_perm_b32 v1, v5, v6, 0xc0c0004
	v_perm_b32 v10, v7, v8, 0xc0c0004
	s_delay_alu instid0(VALU_DEP_1)
	v_lshl_or_b32 v1, v10, 16, v1
	s_cbranch_scc1 .LBB69_1
; %bb.2:
	s_load_b64 s[0:1], s[0:1], 0x10
	v_mov_b32_e32 v3, 0
	s_delay_alu instid0(VALU_DEP_1) | instskip(SKIP_2) | instid1(SALU_CYCLE_1)
	v_mov_b32_e32 v1, v3
	s_wait_kmcnt 0x0
	s_add_nc_u64 s[0:1], s[0:1], s[2:3]
	v_add_nc_u64_e32 v[10:11], s[0:1], v[2:3]
	s_delay_alu instid0(VALU_DEP_1)
	v_add_nc_u64_e32 v[0:1], v[10:11], v[0:1]
	s_clause 0x3
	global_store_b8 v[0:1], v5, off
	global_store_b8 v[0:1], v6, off offset:64
	global_store_b8 v[0:1], v7, off offset:128
	;; [unrolled: 1-line block ×3, first 2 shown]
	s_endpgm
	.section	.rodata,"a",@progbits
	.p2align	6, 0x0
	.amdhsa_kernel _Z6kernelI23blocked_to_warp_stripedaLj256ELj4ELj100EEvPKT0_PKjPS1_
		.amdhsa_group_segment_fixed_size 1056
		.amdhsa_private_segment_fixed_size 0
		.amdhsa_kernarg_size 24
		.amdhsa_user_sgpr_count 2
		.amdhsa_user_sgpr_dispatch_ptr 0
		.amdhsa_user_sgpr_queue_ptr 0
		.amdhsa_user_sgpr_kernarg_segment_ptr 1
		.amdhsa_user_sgpr_dispatch_id 0
		.amdhsa_user_sgpr_kernarg_preload_length 0
		.amdhsa_user_sgpr_kernarg_preload_offset 0
		.amdhsa_user_sgpr_private_segment_size 0
		.amdhsa_wavefront_size32 1
		.amdhsa_uses_dynamic_stack 0
		.amdhsa_enable_private_segment 0
		.amdhsa_system_sgpr_workgroup_id_x 1
		.amdhsa_system_sgpr_workgroup_id_y 0
		.amdhsa_system_sgpr_workgroup_id_z 0
		.amdhsa_system_sgpr_workgroup_info 0
		.amdhsa_system_vgpr_workitem_id 0
		.amdhsa_next_free_vgpr 12
		.amdhsa_next_free_sgpr 7
		.amdhsa_named_barrier_count 0
		.amdhsa_reserve_vcc 0
		.amdhsa_float_round_mode_32 0
		.amdhsa_float_round_mode_16_64 0
		.amdhsa_float_denorm_mode_32 3
		.amdhsa_float_denorm_mode_16_64 3
		.amdhsa_fp16_overflow 0
		.amdhsa_memory_ordered 1
		.amdhsa_forward_progress 1
		.amdhsa_inst_pref_size 3
		.amdhsa_round_robin_scheduling 0
		.amdhsa_exception_fp_ieee_invalid_op 0
		.amdhsa_exception_fp_denorm_src 0
		.amdhsa_exception_fp_ieee_div_zero 0
		.amdhsa_exception_fp_ieee_overflow 0
		.amdhsa_exception_fp_ieee_underflow 0
		.amdhsa_exception_fp_ieee_inexact 0
		.amdhsa_exception_int_div_zero 0
	.end_amdhsa_kernel
	.section	.text._Z6kernelI23blocked_to_warp_stripedaLj256ELj4ELj100EEvPKT0_PKjPS1_,"axG",@progbits,_Z6kernelI23blocked_to_warp_stripedaLj256ELj4ELj100EEvPKT0_PKjPS1_,comdat
.Lfunc_end69:
	.size	_Z6kernelI23blocked_to_warp_stripedaLj256ELj4ELj100EEvPKT0_PKjPS1_, .Lfunc_end69-_Z6kernelI23blocked_to_warp_stripedaLj256ELj4ELj100EEvPKT0_PKjPS1_
                                        ; -- End function
	.set _Z6kernelI23blocked_to_warp_stripedaLj256ELj4ELj100EEvPKT0_PKjPS1_.num_vgpr, 12
	.set _Z6kernelI23blocked_to_warp_stripedaLj256ELj4ELj100EEvPKT0_PKjPS1_.num_agpr, 0
	.set _Z6kernelI23blocked_to_warp_stripedaLj256ELj4ELj100EEvPKT0_PKjPS1_.numbered_sgpr, 7
	.set _Z6kernelI23blocked_to_warp_stripedaLj256ELj4ELj100EEvPKT0_PKjPS1_.num_named_barrier, 0
	.set _Z6kernelI23blocked_to_warp_stripedaLj256ELj4ELj100EEvPKT0_PKjPS1_.private_seg_size, 0
	.set _Z6kernelI23blocked_to_warp_stripedaLj256ELj4ELj100EEvPKT0_PKjPS1_.uses_vcc, 0
	.set _Z6kernelI23blocked_to_warp_stripedaLj256ELj4ELj100EEvPKT0_PKjPS1_.uses_flat_scratch, 0
	.set _Z6kernelI23blocked_to_warp_stripedaLj256ELj4ELj100EEvPKT0_PKjPS1_.has_dyn_sized_stack, 0
	.set _Z6kernelI23blocked_to_warp_stripedaLj256ELj4ELj100EEvPKT0_PKjPS1_.has_recursion, 0
	.set _Z6kernelI23blocked_to_warp_stripedaLj256ELj4ELj100EEvPKT0_PKjPS1_.has_indirect_call, 0
	.section	.AMDGPU.csdata,"",@progbits
; Kernel info:
; codeLenInByte = 380
; TotalNumSgprs: 7
; NumVgprs: 12
; ScratchSize: 0
; MemoryBound: 0
; FloatMode: 240
; IeeeMode: 1
; LDSByteSize: 1056 bytes/workgroup (compile time only)
; SGPRBlocks: 0
; VGPRBlocks: 0
; NumSGPRsForWavesPerEU: 7
; NumVGPRsForWavesPerEU: 12
; NamedBarCnt: 0
; Occupancy: 16
; WaveLimiterHint : 0
; COMPUTE_PGM_RSRC2:SCRATCH_EN: 0
; COMPUTE_PGM_RSRC2:USER_SGPR: 2
; COMPUTE_PGM_RSRC2:TRAP_HANDLER: 0
; COMPUTE_PGM_RSRC2:TGID_X_EN: 1
; COMPUTE_PGM_RSRC2:TGID_Y_EN: 0
; COMPUTE_PGM_RSRC2:TGID_Z_EN: 0
; COMPUTE_PGM_RSRC2:TIDIG_COMP_CNT: 0
	.section	.text._Z6kernelI23blocked_to_warp_stripedaLj256ELj7ELj100EEvPKT0_PKjPS1_,"axG",@progbits,_Z6kernelI23blocked_to_warp_stripedaLj256ELj7ELj100EEvPKT0_PKjPS1_,comdat
	.protected	_Z6kernelI23blocked_to_warp_stripedaLj256ELj7ELj100EEvPKT0_PKjPS1_ ; -- Begin function _Z6kernelI23blocked_to_warp_stripedaLj256ELj7ELj100EEvPKT0_PKjPS1_
	.globl	_Z6kernelI23blocked_to_warp_stripedaLj256ELj7ELj100EEvPKT0_PKjPS1_
	.p2align	8
	.type	_Z6kernelI23blocked_to_warp_stripedaLj256ELj7ELj100EEvPKT0_PKjPS1_,@function
_Z6kernelI23blocked_to_warp_stripedaLj256ELj7ELj100EEvPKT0_PKjPS1_: ; @_Z6kernelI23blocked_to_warp_stripedaLj256ELj7ELj100EEvPKT0_PKjPS1_
; %bb.0:
	s_load_b64 s[4:5], s[0:1], 0x0
	s_bfe_u32 s2, ttmp6, 0x4000c
	s_and_b32 s3, ttmp6, 15
	s_add_co_i32 s2, s2, 1
	s_getreg_b32 s6, hwreg(HW_REG_IB_STS2, 6, 4)
	s_mul_i32 s2, ttmp9, s2
	v_mul_u32_u24_e32 v2, 7, v0
	s_add_co_i32 s2, s3, s2
	s_cmp_eq_u32 s6, 0
	s_mov_b32 s3, 0
	s_cselect_b32 s2, ttmp9, s2
	v_lshrrev_b32_e32 v7, 6, v0
	s_mulk_i32 s2, 0x700
	s_delay_alu instid0(VALU_DEP_1)
	v_mul_u32_u24_e32 v7, 0x1c0, v7
	s_wait_kmcnt 0x0
	s_add_nc_u64 s[4:5], s[4:5], s[2:3]
	s_clause 0x2
	global_load_b32 v3, v2, s[4:5]
	global_load_u16 v4, v2, s[4:5] offset:4
	global_load_i8 v1, v2, s[4:5] offset:6
	s_wait_xcnt 0x0
	s_movk_i32 s4, 0x64
	s_wait_loadcnt 0x2
	v_dual_lshrrev_b32 v2, 24, v3 :: v_dual_lshrrev_b32 v5, 16, v3
	v_perm_b32 v8, v3, v3, 0x3020104
	s_wait_loadcnt 0x1
	v_and_b32_e32 v9, 0xffff, v4
	s_delay_alu instid0(VALU_DEP_3) | instskip(NEXT) | instid1(VALU_DEP_3)
	v_lshlrev_b16 v2, 8, v2
	v_perm_b32 v8, v3, v8, 0xc0c0104
	s_delay_alu instid0(VALU_DEP_2) | instskip(NEXT) | instid1(VALU_DEP_1)
	v_lshrrev_b32_e32 v2, 8, v2
	v_lshlrev_b16 v6, 8, v2
	v_mbcnt_lo_u32_b32 v2, -1, 0
	s_delay_alu instid0(VALU_DEP_2) | instskip(NEXT) | instid1(VALU_DEP_2)
	v_bitop3_b16 v5, v5, v6, 0xff bitop3:0xec
	v_mul_u32_u24_e32 v6, 7, v2
	s_delay_alu instid0(VALU_DEP_1) | instskip(SKIP_1) | instid1(VALU_DEP_2)
	v_dual_lshlrev_b32 v10, 16, v5 :: v_dual_add_nc_u32 v3, v6, v7
	v_dual_lshrrev_b32 v5, 8, v9 :: v_dual_add_nc_u32 v6, v2, v7
	v_or_b32_e32 v11, v8, v10
.LBB70_1:                               ; =>This Inner Loop Header: Depth=1
	ds_store_b32 v3, v11
	ds_store_b8 v3, v4 offset:4
	ds_store_b8 v3, v5 offset:5
	s_wait_loadcnt 0x0
	ds_store_b8 v3, v1 offset:6
	; wave barrier
	ds_load_u8 v7, v6
	ds_load_u8 v8, v6 offset:64
	ds_load_u8 v9, v6 offset:128
	;; [unrolled: 1-line block ×6, first 2 shown]
	s_add_co_i32 s4, s4, -1
	s_wait_dscnt 0x0
	s_cmp_lg_u32 s4, 0
	s_barrier_signal -1
	s_barrier_wait -1
	v_perm_b32 v11, v7, v8, 0xc0c0004
	v_perm_b32 v12, v9, v10, 0xc0c0004
	s_delay_alu instid0(VALU_DEP_1)
	v_lshl_or_b32 v11, v12, 16, v11
	s_cbranch_scc1 .LBB70_1
; %bb.2:
	s_load_b64 s[0:1], s[0:1], 0x10
	v_mov_b32_e32 v3, 0
	v_and_b32_e32 v0, 0xc0, v0
	s_wait_kmcnt 0x0
	s_add_nc_u64 s[0:1], s[0:1], s[2:3]
	s_delay_alu instid0(VALU_DEP_2) | instid1(SALU_CYCLE_1)
	v_add_nc_u64_e32 v[12:13], s[0:1], v[2:3]
	s_delay_alu instid0(VALU_DEP_2) | instskip(NEXT) | instid1(VALU_DEP_1)
	v_mul_u32_u24_e32 v2, 7, v0
	v_add_nc_u64_e32 v[2:3], v[12:13], v[2:3]
	s_clause 0x6
	global_store_b8 v[2:3], v7, off
	global_store_b8 v[2:3], v8, off offset:64
	global_store_b8 v[2:3], v9, off offset:128
	;; [unrolled: 1-line block ×6, first 2 shown]
	s_endpgm
	.section	.rodata,"a",@progbits
	.p2align	6, 0x0
	.amdhsa_kernel _Z6kernelI23blocked_to_warp_stripedaLj256ELj7ELj100EEvPKT0_PKjPS1_
		.amdhsa_group_segment_fixed_size 1792
		.amdhsa_private_segment_fixed_size 0
		.amdhsa_kernarg_size 24
		.amdhsa_user_sgpr_count 2
		.amdhsa_user_sgpr_dispatch_ptr 0
		.amdhsa_user_sgpr_queue_ptr 0
		.amdhsa_user_sgpr_kernarg_segment_ptr 1
		.amdhsa_user_sgpr_dispatch_id 0
		.amdhsa_user_sgpr_kernarg_preload_length 0
		.amdhsa_user_sgpr_kernarg_preload_offset 0
		.amdhsa_user_sgpr_private_segment_size 0
		.amdhsa_wavefront_size32 1
		.amdhsa_uses_dynamic_stack 0
		.amdhsa_enable_private_segment 0
		.amdhsa_system_sgpr_workgroup_id_x 1
		.amdhsa_system_sgpr_workgroup_id_y 0
		.amdhsa_system_sgpr_workgroup_id_z 0
		.amdhsa_system_sgpr_workgroup_info 0
		.amdhsa_system_vgpr_workitem_id 0
		.amdhsa_next_free_vgpr 14
		.amdhsa_next_free_sgpr 7
		.amdhsa_named_barrier_count 0
		.amdhsa_reserve_vcc 0
		.amdhsa_float_round_mode_32 0
		.amdhsa_float_round_mode_16_64 0
		.amdhsa_float_denorm_mode_32 3
		.amdhsa_float_denorm_mode_16_64 3
		.amdhsa_fp16_overflow 0
		.amdhsa_memory_ordered 1
		.amdhsa_forward_progress 1
		.amdhsa_inst_pref_size 5
		.amdhsa_round_robin_scheduling 0
		.amdhsa_exception_fp_ieee_invalid_op 0
		.amdhsa_exception_fp_denorm_src 0
		.amdhsa_exception_fp_ieee_div_zero 0
		.amdhsa_exception_fp_ieee_overflow 0
		.amdhsa_exception_fp_ieee_underflow 0
		.amdhsa_exception_fp_ieee_inexact 0
		.amdhsa_exception_int_div_zero 0
	.end_amdhsa_kernel
	.section	.text._Z6kernelI23blocked_to_warp_stripedaLj256ELj7ELj100EEvPKT0_PKjPS1_,"axG",@progbits,_Z6kernelI23blocked_to_warp_stripedaLj256ELj7ELj100EEvPKT0_PKjPS1_,comdat
.Lfunc_end70:
	.size	_Z6kernelI23blocked_to_warp_stripedaLj256ELj7ELj100EEvPKT0_PKjPS1_, .Lfunc_end70-_Z6kernelI23blocked_to_warp_stripedaLj256ELj7ELj100EEvPKT0_PKjPS1_
                                        ; -- End function
	.set _Z6kernelI23blocked_to_warp_stripedaLj256ELj7ELj100EEvPKT0_PKjPS1_.num_vgpr, 14
	.set _Z6kernelI23blocked_to_warp_stripedaLj256ELj7ELj100EEvPKT0_PKjPS1_.num_agpr, 0
	.set _Z6kernelI23blocked_to_warp_stripedaLj256ELj7ELj100EEvPKT0_PKjPS1_.numbered_sgpr, 7
	.set _Z6kernelI23blocked_to_warp_stripedaLj256ELj7ELj100EEvPKT0_PKjPS1_.num_named_barrier, 0
	.set _Z6kernelI23blocked_to_warp_stripedaLj256ELj7ELj100EEvPKT0_PKjPS1_.private_seg_size, 0
	.set _Z6kernelI23blocked_to_warp_stripedaLj256ELj7ELj100EEvPKT0_PKjPS1_.uses_vcc, 0
	.set _Z6kernelI23blocked_to_warp_stripedaLj256ELj7ELj100EEvPKT0_PKjPS1_.uses_flat_scratch, 0
	.set _Z6kernelI23blocked_to_warp_stripedaLj256ELj7ELj100EEvPKT0_PKjPS1_.has_dyn_sized_stack, 0
	.set _Z6kernelI23blocked_to_warp_stripedaLj256ELj7ELj100EEvPKT0_PKjPS1_.has_recursion, 0
	.set _Z6kernelI23blocked_to_warp_stripedaLj256ELj7ELj100EEvPKT0_PKjPS1_.has_indirect_call, 0
	.section	.AMDGPU.csdata,"",@progbits
; Kernel info:
; codeLenInByte = 560
; TotalNumSgprs: 7
; NumVgprs: 14
; ScratchSize: 0
; MemoryBound: 0
; FloatMode: 240
; IeeeMode: 1
; LDSByteSize: 1792 bytes/workgroup (compile time only)
; SGPRBlocks: 0
; VGPRBlocks: 0
; NumSGPRsForWavesPerEU: 7
; NumVGPRsForWavesPerEU: 14
; NamedBarCnt: 0
; Occupancy: 16
; WaveLimiterHint : 0
; COMPUTE_PGM_RSRC2:SCRATCH_EN: 0
; COMPUTE_PGM_RSRC2:USER_SGPR: 2
; COMPUTE_PGM_RSRC2:TRAP_HANDLER: 0
; COMPUTE_PGM_RSRC2:TGID_X_EN: 1
; COMPUTE_PGM_RSRC2:TGID_Y_EN: 0
; COMPUTE_PGM_RSRC2:TGID_Z_EN: 0
; COMPUTE_PGM_RSRC2:TIDIG_COMP_CNT: 0
	.section	.text._Z6kernelI23blocked_to_warp_stripedaLj256ELj8ELj100EEvPKT0_PKjPS1_,"axG",@progbits,_Z6kernelI23blocked_to_warp_stripedaLj256ELj8ELj100EEvPKT0_PKjPS1_,comdat
	.protected	_Z6kernelI23blocked_to_warp_stripedaLj256ELj8ELj100EEvPKT0_PKjPS1_ ; -- Begin function _Z6kernelI23blocked_to_warp_stripedaLj256ELj8ELj100EEvPKT0_PKjPS1_
	.globl	_Z6kernelI23blocked_to_warp_stripedaLj256ELj8ELj100EEvPKT0_PKjPS1_
	.p2align	8
	.type	_Z6kernelI23blocked_to_warp_stripedaLj256ELj8ELj100EEvPKT0_PKjPS1_,@function
_Z6kernelI23blocked_to_warp_stripedaLj256ELj8ELj100EEvPKT0_PKjPS1_: ; @_Z6kernelI23blocked_to_warp_stripedaLj256ELj8ELj100EEvPKT0_PKjPS1_
; %bb.0:
	s_load_b64 s[4:5], s[0:1], 0x0
	s_bfe_u32 s2, ttmp6, 0x4000c
	s_and_b32 s3, ttmp6, 15
	s_add_co_i32 s2, s2, 1
	s_getreg_b32 s6, hwreg(HW_REG_IB_STS2, 6, 4)
	s_mul_i32 s2, ttmp9, s2
	v_mbcnt_lo_u32_b32 v2, -1, 0
	s_add_co_i32 s3, s3, s2
	s_cmp_eq_u32 s6, 0
	s_cselect_b32 s2, ttmp9, s3
	s_mov_b32 s3, 0
	s_lshl_b32 s2, s2, 11
	v_and_or_b32 v1, 0xc0, v0, v2
	s_delay_alu instid0(VALU_DEP_1)
	v_dual_lshrrev_b32 v3, 2, v1 :: v_dual_lshlrev_b32 v1, 3, v1
	s_wait_kmcnt 0x0
	s_add_nc_u64 s[4:5], s[4:5], s[2:3]
	global_load_b64 v[4:5], v0, s[4:5] scale_offset
	s_wait_xcnt 0x0
	v_lshlrev_b32_e32 v0, 3, v0
	s_movk_i32 s4, 0x64
	v_and_b32_e32 v3, 52, v3
	s_delay_alu instid0(VALU_DEP_2) | instskip(NEXT) | instid1(VALU_DEP_2)
	v_and_b32_e32 v0, 0x600, v0
	v_add_nc_u32_e32 v1, v3, v1
	s_delay_alu instid0(VALU_DEP_2) | instskip(SKIP_3) | instid1(VALU_DEP_3)
	v_or_b32_e32 v6, 0x80, v0
	v_or_b32_e32 v7, 0x100, v0
	;; [unrolled: 1-line block ×3, first 2 shown]
	v_dual_lshrrev_b32 v10, 5, v0 :: v_dual_bitop2_b32 v9, v2, v0 bitop3:0x54
	v_dual_lshrrev_b32 v6, 5, v6 :: v_dual_lshrrev_b32 v7, 5, v7
	s_delay_alu instid0(VALU_DEP_2) | instskip(NEXT) | instid1(VALU_DEP_2)
	v_dual_lshrrev_b32 v8, 5, v8 :: v_dual_add_nc_u32 v3, v10, v9
	v_dual_add_nc_u32 v6, v6, v9 :: v_dual_add_nc_u32 v7, v7, v9
	s_delay_alu instid0(VALU_DEP_2)
	v_add_nc_u32_e32 v8, v8, v9
.LBB71_1:                               ; =>This Inner Loop Header: Depth=1
	s_wait_loadcnt 0x0
	ds_store_2addr_b32 v1, v4, v5 offset1:1
	; wave barrier
	ds_load_u8 v9, v3
	ds_load_u8 v10, v3 offset:64
	ds_load_u8 v11, v6 offset:128
	;; [unrolled: 1-line block ×7, first 2 shown]
	s_add_co_i32 s4, s4, -1
	s_wait_dscnt 0x0
	s_cmp_lg_u32 s4, 0
	s_barrier_signal -1
	s_barrier_wait -1
	v_perm_b32 v4, v9, v10, 0xc0c0004
	v_perm_b32 v5, v11, v12, 0xc0c0004
	v_perm_b32 v17, v13, v14, 0xc0c0004
	v_perm_b32 v18, v15, v16, 0xc0c0004
	s_delay_alu instid0(VALU_DEP_3) | instskip(NEXT) | instid1(VALU_DEP_2)
	v_lshl_or_b32 v4, v5, 16, v4
	v_lshl_or_b32 v5, v18, 16, v17
	s_cbranch_scc1 .LBB71_1
; %bb.2:
	s_load_b64 s[0:1], s[0:1], 0x10
	v_mov_b32_e32 v3, 0
	s_delay_alu instid0(VALU_DEP_1) | instskip(SKIP_2) | instid1(SALU_CYCLE_1)
	v_mov_b32_e32 v1, v3
	s_wait_kmcnt 0x0
	s_add_nc_u64 s[0:1], s[0:1], s[2:3]
	v_add_nc_u64_e32 v[4:5], s[0:1], v[2:3]
	s_delay_alu instid0(VALU_DEP_1)
	v_add_nc_u64_e32 v[0:1], v[4:5], v[0:1]
	s_clause 0x7
	global_store_b8 v[0:1], v9, off
	global_store_b8 v[0:1], v10, off offset:64
	global_store_b8 v[0:1], v11, off offset:128
	;; [unrolled: 1-line block ×7, first 2 shown]
	s_endpgm
	.section	.rodata,"a",@progbits
	.p2align	6, 0x0
	.amdhsa_kernel _Z6kernelI23blocked_to_warp_stripedaLj256ELj8ELj100EEvPKT0_PKjPS1_
		.amdhsa_group_segment_fixed_size 2112
		.amdhsa_private_segment_fixed_size 0
		.amdhsa_kernarg_size 24
		.amdhsa_user_sgpr_count 2
		.amdhsa_user_sgpr_dispatch_ptr 0
		.amdhsa_user_sgpr_queue_ptr 0
		.amdhsa_user_sgpr_kernarg_segment_ptr 1
		.amdhsa_user_sgpr_dispatch_id 0
		.amdhsa_user_sgpr_kernarg_preload_length 0
		.amdhsa_user_sgpr_kernarg_preload_offset 0
		.amdhsa_user_sgpr_private_segment_size 0
		.amdhsa_wavefront_size32 1
		.amdhsa_uses_dynamic_stack 0
		.amdhsa_enable_private_segment 0
		.amdhsa_system_sgpr_workgroup_id_x 1
		.amdhsa_system_sgpr_workgroup_id_y 0
		.amdhsa_system_sgpr_workgroup_id_z 0
		.amdhsa_system_sgpr_workgroup_info 0
		.amdhsa_system_vgpr_workitem_id 0
		.amdhsa_next_free_vgpr 19
		.amdhsa_next_free_sgpr 7
		.amdhsa_named_barrier_count 0
		.amdhsa_reserve_vcc 0
		.amdhsa_float_round_mode_32 0
		.amdhsa_float_round_mode_16_64 0
		.amdhsa_float_denorm_mode_32 3
		.amdhsa_float_denorm_mode_16_64 3
		.amdhsa_fp16_overflow 0
		.amdhsa_memory_ordered 1
		.amdhsa_forward_progress 1
		.amdhsa_inst_pref_size 5
		.amdhsa_round_robin_scheduling 0
		.amdhsa_exception_fp_ieee_invalid_op 0
		.amdhsa_exception_fp_denorm_src 0
		.amdhsa_exception_fp_ieee_div_zero 0
		.amdhsa_exception_fp_ieee_overflow 0
		.amdhsa_exception_fp_ieee_underflow 0
		.amdhsa_exception_fp_ieee_inexact 0
		.amdhsa_exception_int_div_zero 0
	.end_amdhsa_kernel
	.section	.text._Z6kernelI23blocked_to_warp_stripedaLj256ELj8ELj100EEvPKT0_PKjPS1_,"axG",@progbits,_Z6kernelI23blocked_to_warp_stripedaLj256ELj8ELj100EEvPKT0_PKjPS1_,comdat
.Lfunc_end71:
	.size	_Z6kernelI23blocked_to_warp_stripedaLj256ELj8ELj100EEvPKT0_PKjPS1_, .Lfunc_end71-_Z6kernelI23blocked_to_warp_stripedaLj256ELj8ELj100EEvPKT0_PKjPS1_
                                        ; -- End function
	.set _Z6kernelI23blocked_to_warp_stripedaLj256ELj8ELj100EEvPKT0_PKjPS1_.num_vgpr, 19
	.set _Z6kernelI23blocked_to_warp_stripedaLj256ELj8ELj100EEvPKT0_PKjPS1_.num_agpr, 0
	.set _Z6kernelI23blocked_to_warp_stripedaLj256ELj8ELj100EEvPKT0_PKjPS1_.numbered_sgpr, 7
	.set _Z6kernelI23blocked_to_warp_stripedaLj256ELj8ELj100EEvPKT0_PKjPS1_.num_named_barrier, 0
	.set _Z6kernelI23blocked_to_warp_stripedaLj256ELj8ELj100EEvPKT0_PKjPS1_.private_seg_size, 0
	.set _Z6kernelI23blocked_to_warp_stripedaLj256ELj8ELj100EEvPKT0_PKjPS1_.uses_vcc, 0
	.set _Z6kernelI23blocked_to_warp_stripedaLj256ELj8ELj100EEvPKT0_PKjPS1_.uses_flat_scratch, 0
	.set _Z6kernelI23blocked_to_warp_stripedaLj256ELj8ELj100EEvPKT0_PKjPS1_.has_dyn_sized_stack, 0
	.set _Z6kernelI23blocked_to_warp_stripedaLj256ELj8ELj100EEvPKT0_PKjPS1_.has_recursion, 0
	.set _Z6kernelI23blocked_to_warp_stripedaLj256ELj8ELj100EEvPKT0_PKjPS1_.has_indirect_call, 0
	.section	.AMDGPU.csdata,"",@progbits
; Kernel info:
; codeLenInByte = 540
; TotalNumSgprs: 7
; NumVgprs: 19
; ScratchSize: 0
; MemoryBound: 0
; FloatMode: 240
; IeeeMode: 1
; LDSByteSize: 2112 bytes/workgroup (compile time only)
; SGPRBlocks: 0
; VGPRBlocks: 1
; NumSGPRsForWavesPerEU: 7
; NumVGPRsForWavesPerEU: 19
; NamedBarCnt: 0
; Occupancy: 16
; WaveLimiterHint : 0
; COMPUTE_PGM_RSRC2:SCRATCH_EN: 0
; COMPUTE_PGM_RSRC2:USER_SGPR: 2
; COMPUTE_PGM_RSRC2:TRAP_HANDLER: 0
; COMPUTE_PGM_RSRC2:TGID_X_EN: 1
; COMPUTE_PGM_RSRC2:TGID_Y_EN: 0
; COMPUTE_PGM_RSRC2:TGID_Z_EN: 0
; COMPUTE_PGM_RSRC2:TIDIG_COMP_CNT: 0
	.section	.text._Z6kernelI23blocked_to_warp_stripedxLj256ELj1ELj100EEvPKT0_PKjPS1_,"axG",@progbits,_Z6kernelI23blocked_to_warp_stripedxLj256ELj1ELj100EEvPKT0_PKjPS1_,comdat
	.protected	_Z6kernelI23blocked_to_warp_stripedxLj256ELj1ELj100EEvPKT0_PKjPS1_ ; -- Begin function _Z6kernelI23blocked_to_warp_stripedxLj256ELj1ELj100EEvPKT0_PKjPS1_
	.globl	_Z6kernelI23blocked_to_warp_stripedxLj256ELj1ELj100EEvPKT0_PKjPS1_
	.p2align	8
	.type	_Z6kernelI23blocked_to_warp_stripedxLj256ELj1ELj100EEvPKT0_PKjPS1_,@function
_Z6kernelI23blocked_to_warp_stripedxLj256ELj1ELj100EEvPKT0_PKjPS1_: ; @_Z6kernelI23blocked_to_warp_stripedxLj256ELj1ELj100EEvPKT0_PKjPS1_
; %bb.0:
	s_load_b64 s[4:5], s[0:1], 0x0
	s_bfe_u32 s2, ttmp6, 0x4000c
	s_and_b32 s3, ttmp6, 15
	s_add_co_i32 s2, s2, 1
	s_getreg_b32 s6, hwreg(HW_REG_IB_STS2, 6, 4)
	s_mul_i32 s2, ttmp9, s2
	v_mbcnt_lo_u32_b32 v1, -1, 0
	s_add_co_i32 s3, s3, s2
	s_cmp_eq_u32 s6, 0
	s_cselect_b32 s2, ttmp9, s3
	s_mov_b32 s3, 0
	s_lshl_b32 s2, s2, 8
	s_delay_alu instid0(SALU_CYCLE_1)
	s_lshl_b64 s[2:3], s[2:3], 3
	s_wait_kmcnt 0x0
	s_add_nc_u64 s[4:5], s[4:5], s[2:3]
	global_load_b64 v[2:3], v0, s[4:5] scale_offset
	s_wait_xcnt 0x0
	v_and_b32_e32 v0, 0xc0, v0
	s_movk_i32 s4, 0x64
	s_delay_alu instid0(VALU_DEP_1) | instskip(NEXT) | instid1(VALU_DEP_1)
	v_or_b32_e32 v4, v1, v0
	v_lshlrev_b32_e32 v4, 3, v4
.LBB72_1:                               ; =>This Inner Loop Header: Depth=1
	s_wait_loadcnt 0x0
	ds_store_b64 v4, v[2:3]
	; wave barrier
	ds_load_b64 v[2:3], v4
	s_add_co_i32 s4, s4, -1
	s_wait_dscnt 0x0
	s_cmp_lg_u32 s4, 0
	s_barrier_signal -1
	s_barrier_wait -1
	s_cbranch_scc1 .LBB72_1
; %bb.2:
	s_load_b64 s[0:1], s[0:1], 0x10
	v_dual_mov_b32 v5, 0 :: v_dual_lshlrev_b32 v4, 3, v1
	s_wait_kmcnt 0x0
	s_add_nc_u64 s[0:1], s[0:1], s[2:3]
	s_delay_alu instid0(VALU_DEP_1) | instid1(SALU_CYCLE_1)
	v_add_nc_u64_e32 v[6:7], s[0:1], v[4:5]
	v_lshlrev_b32_e32 v4, 3, v0
	s_delay_alu instid0(VALU_DEP_1)
	v_add_nc_u64_e32 v[0:1], v[6:7], v[4:5]
	global_store_b64 v[0:1], v[2:3], off
	s_endpgm
	.section	.rodata,"a",@progbits
	.p2align	6, 0x0
	.amdhsa_kernel _Z6kernelI23blocked_to_warp_stripedxLj256ELj1ELj100EEvPKT0_PKjPS1_
		.amdhsa_group_segment_fixed_size 2048
		.amdhsa_private_segment_fixed_size 0
		.amdhsa_kernarg_size 24
		.amdhsa_user_sgpr_count 2
		.amdhsa_user_sgpr_dispatch_ptr 0
		.amdhsa_user_sgpr_queue_ptr 0
		.amdhsa_user_sgpr_kernarg_segment_ptr 1
		.amdhsa_user_sgpr_dispatch_id 0
		.amdhsa_user_sgpr_kernarg_preload_length 0
		.amdhsa_user_sgpr_kernarg_preload_offset 0
		.amdhsa_user_sgpr_private_segment_size 0
		.amdhsa_wavefront_size32 1
		.amdhsa_uses_dynamic_stack 0
		.amdhsa_enable_private_segment 0
		.amdhsa_system_sgpr_workgroup_id_x 1
		.amdhsa_system_sgpr_workgroup_id_y 0
		.amdhsa_system_sgpr_workgroup_id_z 0
		.amdhsa_system_sgpr_workgroup_info 0
		.amdhsa_system_vgpr_workitem_id 0
		.amdhsa_next_free_vgpr 8
		.amdhsa_next_free_sgpr 7
		.amdhsa_named_barrier_count 0
		.amdhsa_reserve_vcc 0
		.amdhsa_float_round_mode_32 0
		.amdhsa_float_round_mode_16_64 0
		.amdhsa_float_denorm_mode_32 3
		.amdhsa_float_denorm_mode_16_64 3
		.amdhsa_fp16_overflow 0
		.amdhsa_memory_ordered 1
		.amdhsa_forward_progress 1
		.amdhsa_inst_pref_size 2
		.amdhsa_round_robin_scheduling 0
		.amdhsa_exception_fp_ieee_invalid_op 0
		.amdhsa_exception_fp_denorm_src 0
		.amdhsa_exception_fp_ieee_div_zero 0
		.amdhsa_exception_fp_ieee_overflow 0
		.amdhsa_exception_fp_ieee_underflow 0
		.amdhsa_exception_fp_ieee_inexact 0
		.amdhsa_exception_int_div_zero 0
	.end_amdhsa_kernel
	.section	.text._Z6kernelI23blocked_to_warp_stripedxLj256ELj1ELj100EEvPKT0_PKjPS1_,"axG",@progbits,_Z6kernelI23blocked_to_warp_stripedxLj256ELj1ELj100EEvPKT0_PKjPS1_,comdat
.Lfunc_end72:
	.size	_Z6kernelI23blocked_to_warp_stripedxLj256ELj1ELj100EEvPKT0_PKjPS1_, .Lfunc_end72-_Z6kernelI23blocked_to_warp_stripedxLj256ELj1ELj100EEvPKT0_PKjPS1_
                                        ; -- End function
	.set _Z6kernelI23blocked_to_warp_stripedxLj256ELj1ELj100EEvPKT0_PKjPS1_.num_vgpr, 8
	.set _Z6kernelI23blocked_to_warp_stripedxLj256ELj1ELj100EEvPKT0_PKjPS1_.num_agpr, 0
	.set _Z6kernelI23blocked_to_warp_stripedxLj256ELj1ELj100EEvPKT0_PKjPS1_.numbered_sgpr, 7
	.set _Z6kernelI23blocked_to_warp_stripedxLj256ELj1ELj100EEvPKT0_PKjPS1_.num_named_barrier, 0
	.set _Z6kernelI23blocked_to_warp_stripedxLj256ELj1ELj100EEvPKT0_PKjPS1_.private_seg_size, 0
	.set _Z6kernelI23blocked_to_warp_stripedxLj256ELj1ELj100EEvPKT0_PKjPS1_.uses_vcc, 0
	.set _Z6kernelI23blocked_to_warp_stripedxLj256ELj1ELj100EEvPKT0_PKjPS1_.uses_flat_scratch, 0
	.set _Z6kernelI23blocked_to_warp_stripedxLj256ELj1ELj100EEvPKT0_PKjPS1_.has_dyn_sized_stack, 0
	.set _Z6kernelI23blocked_to_warp_stripedxLj256ELj1ELj100EEvPKT0_PKjPS1_.has_recursion, 0
	.set _Z6kernelI23blocked_to_warp_stripedxLj256ELj1ELj100EEvPKT0_PKjPS1_.has_indirect_call, 0
	.section	.AMDGPU.csdata,"",@progbits
; Kernel info:
; codeLenInByte = 220
; TotalNumSgprs: 7
; NumVgprs: 8
; ScratchSize: 0
; MemoryBound: 0
; FloatMode: 240
; IeeeMode: 1
; LDSByteSize: 2048 bytes/workgroup (compile time only)
; SGPRBlocks: 0
; VGPRBlocks: 0
; NumSGPRsForWavesPerEU: 7
; NumVGPRsForWavesPerEU: 8
; NamedBarCnt: 0
; Occupancy: 16
; WaveLimiterHint : 0
; COMPUTE_PGM_RSRC2:SCRATCH_EN: 0
; COMPUTE_PGM_RSRC2:USER_SGPR: 2
; COMPUTE_PGM_RSRC2:TRAP_HANDLER: 0
; COMPUTE_PGM_RSRC2:TGID_X_EN: 1
; COMPUTE_PGM_RSRC2:TGID_Y_EN: 0
; COMPUTE_PGM_RSRC2:TGID_Z_EN: 0
; COMPUTE_PGM_RSRC2:TIDIG_COMP_CNT: 0
	.section	.text._Z6kernelI23blocked_to_warp_stripedxLj256ELj2ELj100EEvPKT0_PKjPS1_,"axG",@progbits,_Z6kernelI23blocked_to_warp_stripedxLj256ELj2ELj100EEvPKT0_PKjPS1_,comdat
	.protected	_Z6kernelI23blocked_to_warp_stripedxLj256ELj2ELj100EEvPKT0_PKjPS1_ ; -- Begin function _Z6kernelI23blocked_to_warp_stripedxLj256ELj2ELj100EEvPKT0_PKjPS1_
	.globl	_Z6kernelI23blocked_to_warp_stripedxLj256ELj2ELj100EEvPKT0_PKjPS1_
	.p2align	8
	.type	_Z6kernelI23blocked_to_warp_stripedxLj256ELj2ELj100EEvPKT0_PKjPS1_,@function
_Z6kernelI23blocked_to_warp_stripedxLj256ELj2ELj100EEvPKT0_PKjPS1_: ; @_Z6kernelI23blocked_to_warp_stripedxLj256ELj2ELj100EEvPKT0_PKjPS1_
; %bb.0:
	s_load_b64 s[4:5], s[0:1], 0x0
	s_bfe_u32 s2, ttmp6, 0x4000c
	s_and_b32 s3, ttmp6, 15
	s_add_co_i32 s2, s2, 1
	s_getreg_b32 s6, hwreg(HW_REG_IB_STS2, 6, 4)
	s_mul_i32 s2, ttmp9, s2
	v_mbcnt_lo_u32_b32 v1, -1, 0
	s_add_co_i32 s3, s3, s2
	s_cmp_eq_u32 s6, 0
	v_lshlrev_b32_e32 v6, 1, v0
	s_cselect_b32 s2, ttmp9, s3
	s_mov_b32 s3, 0
	s_lshl_b32 s2, s2, 9
	v_and_or_b32 v7, 0xc0, v0, v1
	s_lshl_b64 s[2:3], s[2:3], 3
	s_wait_kmcnt 0x0
	s_add_nc_u64 s[4:5], s[4:5], s[2:3]
	global_load_b128 v[2:5], v0, s[4:5] scale_offset
	s_wait_xcnt 0x0
	v_and_b32_e32 v0, 0x180, v6
	v_lshrrev_b16 v6, 1, v7
	s_movk_i32 s4, 0x64
	s_delay_alu instid0(VALU_DEP_2) | instskip(SKIP_1) | instid1(VALU_DEP_3)
	v_or_b32_e32 v8, v1, v0
	v_dual_lshrrev_b32 v10, 2, v0 :: v_dual_bitop2_b32 v9, 64, v0 bitop3:0x54
	v_and_b32_e32 v6, 0x68, v6
	s_delay_alu instid0(VALU_DEP_2) | instskip(NEXT) | instid1(VALU_DEP_2)
	v_dual_lshlrev_b32 v8, 3, v8 :: v_dual_lshrrev_b32 v9, 2, v9
	v_lshl_add_u32 v6, v7, 4, v6
	s_delay_alu instid0(VALU_DEP_2)
	v_dual_add_nc_u32 v7, v10, v8 :: v_dual_add_nc_u32 v8, v9, v8
.LBB73_1:                               ; =>This Inner Loop Header: Depth=1
	s_wait_loadcnt 0x0
	ds_store_2addr_b64 v6, v[2:3], v[4:5] offset1:1
	; wave barrier
	ds_load_b64 v[2:3], v7
	ds_load_b64 v[4:5], v8 offset:512
	s_add_co_i32 s4, s4, -1
	s_wait_dscnt 0x0
	s_cmp_lg_u32 s4, 0
	s_barrier_signal -1
	s_barrier_wait -1
	s_cbranch_scc1 .LBB73_1
; %bb.2:
	s_load_b64 s[0:1], s[0:1], 0x10
	v_dual_mov_b32 v7, 0 :: v_dual_lshlrev_b32 v6, 3, v1
	s_wait_kmcnt 0x0
	s_add_nc_u64 s[0:1], s[0:1], s[2:3]
	s_delay_alu instid0(VALU_DEP_1) | instid1(SALU_CYCLE_1)
	v_add_nc_u64_e32 v[8:9], s[0:1], v[6:7]
	v_lshlrev_b32_e32 v6, 3, v0
	s_delay_alu instid0(VALU_DEP_1)
	v_add_nc_u64_e32 v[0:1], v[8:9], v[6:7]
	s_clause 0x1
	global_store_b64 v[0:1], v[2:3], off
	global_store_b64 v[0:1], v[4:5], off offset:512
	s_endpgm
	.section	.rodata,"a",@progbits
	.p2align	6, 0x0
	.amdhsa_kernel _Z6kernelI23blocked_to_warp_stripedxLj256ELj2ELj100EEvPKT0_PKjPS1_
		.amdhsa_group_segment_fixed_size 4224
		.amdhsa_private_segment_fixed_size 0
		.amdhsa_kernarg_size 24
		.amdhsa_user_sgpr_count 2
		.amdhsa_user_sgpr_dispatch_ptr 0
		.amdhsa_user_sgpr_queue_ptr 0
		.amdhsa_user_sgpr_kernarg_segment_ptr 1
		.amdhsa_user_sgpr_dispatch_id 0
		.amdhsa_user_sgpr_kernarg_preload_length 0
		.amdhsa_user_sgpr_kernarg_preload_offset 0
		.amdhsa_user_sgpr_private_segment_size 0
		.amdhsa_wavefront_size32 1
		.amdhsa_uses_dynamic_stack 0
		.amdhsa_enable_private_segment 0
		.amdhsa_system_sgpr_workgroup_id_x 1
		.amdhsa_system_sgpr_workgroup_id_y 0
		.amdhsa_system_sgpr_workgroup_id_z 0
		.amdhsa_system_sgpr_workgroup_info 0
		.amdhsa_system_vgpr_workitem_id 0
		.amdhsa_next_free_vgpr 11
		.amdhsa_next_free_sgpr 7
		.amdhsa_named_barrier_count 0
		.amdhsa_reserve_vcc 0
		.amdhsa_float_round_mode_32 0
		.amdhsa_float_round_mode_16_64 0
		.amdhsa_float_denorm_mode_32 3
		.amdhsa_float_denorm_mode_16_64 3
		.amdhsa_fp16_overflow 0
		.amdhsa_memory_ordered 1
		.amdhsa_forward_progress 1
		.amdhsa_inst_pref_size 3
		.amdhsa_round_robin_scheduling 0
		.amdhsa_exception_fp_ieee_invalid_op 0
		.amdhsa_exception_fp_denorm_src 0
		.amdhsa_exception_fp_ieee_div_zero 0
		.amdhsa_exception_fp_ieee_overflow 0
		.amdhsa_exception_fp_ieee_underflow 0
		.amdhsa_exception_fp_ieee_inexact 0
		.amdhsa_exception_int_div_zero 0
	.end_amdhsa_kernel
	.section	.text._Z6kernelI23blocked_to_warp_stripedxLj256ELj2ELj100EEvPKT0_PKjPS1_,"axG",@progbits,_Z6kernelI23blocked_to_warp_stripedxLj256ELj2ELj100EEvPKT0_PKjPS1_,comdat
.Lfunc_end73:
	.size	_Z6kernelI23blocked_to_warp_stripedxLj256ELj2ELj100EEvPKT0_PKjPS1_, .Lfunc_end73-_Z6kernelI23blocked_to_warp_stripedxLj256ELj2ELj100EEvPKT0_PKjPS1_
                                        ; -- End function
	.set _Z6kernelI23blocked_to_warp_stripedxLj256ELj2ELj100EEvPKT0_PKjPS1_.num_vgpr, 11
	.set _Z6kernelI23blocked_to_warp_stripedxLj256ELj2ELj100EEvPKT0_PKjPS1_.num_agpr, 0
	.set _Z6kernelI23blocked_to_warp_stripedxLj256ELj2ELj100EEvPKT0_PKjPS1_.numbered_sgpr, 7
	.set _Z6kernelI23blocked_to_warp_stripedxLj256ELj2ELj100EEvPKT0_PKjPS1_.num_named_barrier, 0
	.set _Z6kernelI23blocked_to_warp_stripedxLj256ELj2ELj100EEvPKT0_PKjPS1_.private_seg_size, 0
	.set _Z6kernelI23blocked_to_warp_stripedxLj256ELj2ELj100EEvPKT0_PKjPS1_.uses_vcc, 0
	.set _Z6kernelI23blocked_to_warp_stripedxLj256ELj2ELj100EEvPKT0_PKjPS1_.uses_flat_scratch, 0
	.set _Z6kernelI23blocked_to_warp_stripedxLj256ELj2ELj100EEvPKT0_PKjPS1_.has_dyn_sized_stack, 0
	.set _Z6kernelI23blocked_to_warp_stripedxLj256ELj2ELj100EEvPKT0_PKjPS1_.has_recursion, 0
	.set _Z6kernelI23blocked_to_warp_stripedxLj256ELj2ELj100EEvPKT0_PKjPS1_.has_indirect_call, 0
	.section	.AMDGPU.csdata,"",@progbits
; Kernel info:
; codeLenInByte = 320
; TotalNumSgprs: 7
; NumVgprs: 11
; ScratchSize: 0
; MemoryBound: 0
; FloatMode: 240
; IeeeMode: 1
; LDSByteSize: 4224 bytes/workgroup (compile time only)
; SGPRBlocks: 0
; VGPRBlocks: 0
; NumSGPRsForWavesPerEU: 7
; NumVGPRsForWavesPerEU: 11
; NamedBarCnt: 0
; Occupancy: 16
; WaveLimiterHint : 1
; COMPUTE_PGM_RSRC2:SCRATCH_EN: 0
; COMPUTE_PGM_RSRC2:USER_SGPR: 2
; COMPUTE_PGM_RSRC2:TRAP_HANDLER: 0
; COMPUTE_PGM_RSRC2:TGID_X_EN: 1
; COMPUTE_PGM_RSRC2:TGID_Y_EN: 0
; COMPUTE_PGM_RSRC2:TGID_Z_EN: 0
; COMPUTE_PGM_RSRC2:TIDIG_COMP_CNT: 0
	.section	.text._Z6kernelI23blocked_to_warp_stripedxLj256ELj3ELj100EEvPKT0_PKjPS1_,"axG",@progbits,_Z6kernelI23blocked_to_warp_stripedxLj256ELj3ELj100EEvPKT0_PKjPS1_,comdat
	.protected	_Z6kernelI23blocked_to_warp_stripedxLj256ELj3ELj100EEvPKT0_PKjPS1_ ; -- Begin function _Z6kernelI23blocked_to_warp_stripedxLj256ELj3ELj100EEvPKT0_PKjPS1_
	.globl	_Z6kernelI23blocked_to_warp_stripedxLj256ELj3ELj100EEvPKT0_PKjPS1_
	.p2align	8
	.type	_Z6kernelI23blocked_to_warp_stripedxLj256ELj3ELj100EEvPKT0_PKjPS1_,@function
_Z6kernelI23blocked_to_warp_stripedxLj256ELj3ELj100EEvPKT0_PKjPS1_: ; @_Z6kernelI23blocked_to_warp_stripedxLj256ELj3ELj100EEvPKT0_PKjPS1_
; %bb.0:
	s_load_b64 s[4:5], s[0:1], 0x0
	s_bfe_u32 s2, ttmp6, 0x4000c
	s_and_b32 s3, ttmp6, 15
	s_add_co_i32 s2, s2, 1
	s_getreg_b32 s6, hwreg(HW_REG_IB_STS2, 6, 4)
	s_mul_i32 s2, ttmp9, s2
	v_mul_u32_u24_e32 v1, 3, v0
	s_add_co_i32 s3, s3, s2
	s_cmp_eq_u32 s6, 0
	s_cselect_b32 s2, ttmp9, s3
	s_mov_b32 s3, 0
	s_mulk_i32 s2, 0x300
	v_lshlrev_b32_e32 v8, 3, v1
	s_lshl_b64 s[2:3], s[2:3], 3
	s_wait_kmcnt 0x0
	s_add_nc_u64 s[4:5], s[4:5], s[2:3]
	s_clause 0x1
	global_load_b64 v[6:7], v1, s[4:5] offset:16 scale_offset
	global_load_b128 v[2:5], v8, s[4:5]
	s_wait_xcnt 0x1
	v_lshrrev_b32_e32 v1, 6, v0
	s_wait_xcnt 0x0
	s_movk_i32 s4, 0x64
	s_delay_alu instid0(VALU_DEP_1) | instskip(SKIP_1) | instid1(VALU_DEP_2)
	v_mul_u32_u24_e32 v8, 0xc0, v1
	v_mbcnt_lo_u32_b32 v1, -1, 0
	v_lshlrev_b32_e32 v9, 3, v8
	s_delay_alu instid0(VALU_DEP_1)
	v_mad_u32_u24 v8, v1, 24, v9
	v_lshl_or_b32 v9, v1, 3, v9
.LBB74_1:                               ; =>This Inner Loop Header: Depth=1
	s_wait_loadcnt 0x0
	ds_store_2addr_b64 v8, v[2:3], v[4:5] offset1:1
	ds_store_b64 v8, v[6:7] offset:16
	; wave barrier
	ds_load_2addr_stride64_b64 v[2:5], v9 offset1:1
	ds_load_b64 v[6:7], v9 offset:1024
	s_add_co_i32 s4, s4, -1
	s_wait_dscnt 0x0
	s_cmp_lg_u32 s4, 0
	s_barrier_signal -1
	s_barrier_wait -1
	s_cbranch_scc1 .LBB74_1
; %bb.2:
	s_load_b64 s[0:1], s[0:1], 0x10
	v_and_b32_e32 v8, 0xc0, v0
	v_dual_mov_b32 v1, 0 :: v_dual_lshlrev_b32 v0, 3, v1
	s_delay_alu instid0(VALU_DEP_2)
	v_mul_u32_u24_e32 v10, 3, v8
	s_wait_kmcnt 0x0
	s_add_nc_u64 s[0:1], s[0:1], s[2:3]
	s_delay_alu instid0(VALU_DEP_2) | instid1(SALU_CYCLE_1)
	v_add_nc_u64_e32 v[8:9], s[0:1], v[0:1]
	s_delay_alu instid0(VALU_DEP_2) | instskip(NEXT) | instid1(VALU_DEP_1)
	v_lshlrev_b32_e32 v0, 3, v10
	v_add_nc_u64_e32 v[0:1], v[8:9], v[0:1]
	s_clause 0x2
	global_store_b64 v[0:1], v[2:3], off
	global_store_b64 v[0:1], v[4:5], off offset:512
	global_store_b64 v[0:1], v[6:7], off offset:1024
	s_endpgm
	.section	.rodata,"a",@progbits
	.p2align	6, 0x0
	.amdhsa_kernel _Z6kernelI23blocked_to_warp_stripedxLj256ELj3ELj100EEvPKT0_PKjPS1_
		.amdhsa_group_segment_fixed_size 6144
		.amdhsa_private_segment_fixed_size 0
		.amdhsa_kernarg_size 24
		.amdhsa_user_sgpr_count 2
		.amdhsa_user_sgpr_dispatch_ptr 0
		.amdhsa_user_sgpr_queue_ptr 0
		.amdhsa_user_sgpr_kernarg_segment_ptr 1
		.amdhsa_user_sgpr_dispatch_id 0
		.amdhsa_user_sgpr_kernarg_preload_length 0
		.amdhsa_user_sgpr_kernarg_preload_offset 0
		.amdhsa_user_sgpr_private_segment_size 0
		.amdhsa_wavefront_size32 1
		.amdhsa_uses_dynamic_stack 0
		.amdhsa_enable_private_segment 0
		.amdhsa_system_sgpr_workgroup_id_x 1
		.amdhsa_system_sgpr_workgroup_id_y 0
		.amdhsa_system_sgpr_workgroup_id_z 0
		.amdhsa_system_sgpr_workgroup_info 0
		.amdhsa_system_vgpr_workitem_id 0
		.amdhsa_next_free_vgpr 11
		.amdhsa_next_free_sgpr 7
		.amdhsa_named_barrier_count 0
		.amdhsa_reserve_vcc 0
		.amdhsa_float_round_mode_32 0
		.amdhsa_float_round_mode_16_64 0
		.amdhsa_float_denorm_mode_32 3
		.amdhsa_float_denorm_mode_16_64 3
		.amdhsa_fp16_overflow 0
		.amdhsa_memory_ordered 1
		.amdhsa_forward_progress 1
		.amdhsa_inst_pref_size 3
		.amdhsa_round_robin_scheduling 0
		.amdhsa_exception_fp_ieee_invalid_op 0
		.amdhsa_exception_fp_denorm_src 0
		.amdhsa_exception_fp_ieee_div_zero 0
		.amdhsa_exception_fp_ieee_overflow 0
		.amdhsa_exception_fp_ieee_underflow 0
		.amdhsa_exception_fp_ieee_inexact 0
		.amdhsa_exception_int_div_zero 0
	.end_amdhsa_kernel
	.section	.text._Z6kernelI23blocked_to_warp_stripedxLj256ELj3ELj100EEvPKT0_PKjPS1_,"axG",@progbits,_Z6kernelI23blocked_to_warp_stripedxLj256ELj3ELj100EEvPKT0_PKjPS1_,comdat
.Lfunc_end74:
	.size	_Z6kernelI23blocked_to_warp_stripedxLj256ELj3ELj100EEvPKT0_PKjPS1_, .Lfunc_end74-_Z6kernelI23blocked_to_warp_stripedxLj256ELj3ELj100EEvPKT0_PKjPS1_
                                        ; -- End function
	.set _Z6kernelI23blocked_to_warp_stripedxLj256ELj3ELj100EEvPKT0_PKjPS1_.num_vgpr, 11
	.set _Z6kernelI23blocked_to_warp_stripedxLj256ELj3ELj100EEvPKT0_PKjPS1_.num_agpr, 0
	.set _Z6kernelI23blocked_to_warp_stripedxLj256ELj3ELj100EEvPKT0_PKjPS1_.numbered_sgpr, 7
	.set _Z6kernelI23blocked_to_warp_stripedxLj256ELj3ELj100EEvPKT0_PKjPS1_.num_named_barrier, 0
	.set _Z6kernelI23blocked_to_warp_stripedxLj256ELj3ELj100EEvPKT0_PKjPS1_.private_seg_size, 0
	.set _Z6kernelI23blocked_to_warp_stripedxLj256ELj3ELj100EEvPKT0_PKjPS1_.uses_vcc, 0
	.set _Z6kernelI23blocked_to_warp_stripedxLj256ELj3ELj100EEvPKT0_PKjPS1_.uses_flat_scratch, 0
	.set _Z6kernelI23blocked_to_warp_stripedxLj256ELj3ELj100EEvPKT0_PKjPS1_.has_dyn_sized_stack, 0
	.set _Z6kernelI23blocked_to_warp_stripedxLj256ELj3ELj100EEvPKT0_PKjPS1_.has_recursion, 0
	.set _Z6kernelI23blocked_to_warp_stripedxLj256ELj3ELj100EEvPKT0_PKjPS1_.has_indirect_call, 0
	.section	.AMDGPU.csdata,"",@progbits
; Kernel info:
; codeLenInByte = 324
; TotalNumSgprs: 7
; NumVgprs: 11
; ScratchSize: 0
; MemoryBound: 0
; FloatMode: 240
; IeeeMode: 1
; LDSByteSize: 6144 bytes/workgroup (compile time only)
; SGPRBlocks: 0
; VGPRBlocks: 0
; NumSGPRsForWavesPerEU: 7
; NumVGPRsForWavesPerEU: 11
; NamedBarCnt: 0
; Occupancy: 16
; WaveLimiterHint : 1
; COMPUTE_PGM_RSRC2:SCRATCH_EN: 0
; COMPUTE_PGM_RSRC2:USER_SGPR: 2
; COMPUTE_PGM_RSRC2:TRAP_HANDLER: 0
; COMPUTE_PGM_RSRC2:TGID_X_EN: 1
; COMPUTE_PGM_RSRC2:TGID_Y_EN: 0
; COMPUTE_PGM_RSRC2:TGID_Z_EN: 0
; COMPUTE_PGM_RSRC2:TIDIG_COMP_CNT: 0
	.section	.text._Z6kernelI23blocked_to_warp_stripedxLj256ELj4ELj100EEvPKT0_PKjPS1_,"axG",@progbits,_Z6kernelI23blocked_to_warp_stripedxLj256ELj4ELj100EEvPKT0_PKjPS1_,comdat
	.protected	_Z6kernelI23blocked_to_warp_stripedxLj256ELj4ELj100EEvPKT0_PKjPS1_ ; -- Begin function _Z6kernelI23blocked_to_warp_stripedxLj256ELj4ELj100EEvPKT0_PKjPS1_
	.globl	_Z6kernelI23blocked_to_warp_stripedxLj256ELj4ELj100EEvPKT0_PKjPS1_
	.p2align	8
	.type	_Z6kernelI23blocked_to_warp_stripedxLj256ELj4ELj100EEvPKT0_PKjPS1_,@function
_Z6kernelI23blocked_to_warp_stripedxLj256ELj4ELj100EEvPKT0_PKjPS1_: ; @_Z6kernelI23blocked_to_warp_stripedxLj256ELj4ELj100EEvPKT0_PKjPS1_
; %bb.0:
	s_load_b64 s[4:5], s[0:1], 0x0
	s_bfe_u32 s2, ttmp6, 0x4000c
	s_and_b32 s3, ttmp6, 15
	s_add_co_i32 s2, s2, 1
	s_getreg_b32 s6, hwreg(HW_REG_IB_STS2, 6, 4)
	s_mul_i32 s2, ttmp9, s2
	v_dual_lshlrev_b32 v1, 5, v0 :: v_dual_lshlrev_b32 v10, 2, v0
	s_add_co_i32 s3, s3, s2
	s_cmp_eq_u32 s6, 0
	v_and_b32_e32 v11, 0xc0, v0
	s_cselect_b32 s2, ttmp9, s3
	s_mov_b32 s3, 0
	s_lshl_b32 s2, s2, 10
	v_and_b32_e32 v0, 0x300, v10
	s_lshl_b64 s[2:3], s[2:3], 3
	s_delay_alu instid0(VALU_DEP_1)
	v_or_b32_e32 v14, 0x80, v0
	s_wait_kmcnt 0x0
	s_add_nc_u64 s[4:5], s[4:5], s[2:3]
	v_or_b32_e32 v15, 0xc0, v0
	s_clause 0x1
	global_load_b128 v[2:5], v1, s[4:5] offset:16
	global_load_b128 v[6:9], v1, s[4:5]
	s_wait_xcnt 0x0
	v_mbcnt_lo_u32_b32 v1, -1, 0
	v_or_b32_e32 v13, 64, v0
	s_movk_i32 s4, 0x64
	s_delay_alu instid0(VALU_DEP_2) | instskip(SKIP_2) | instid1(VALU_DEP_2)
	v_dual_lshrrev_b32 v16, 2, v0 :: v_dual_bitop2_b32 v10, v1, v11 bitop3:0x54
	v_or_b32_e32 v12, v1, v0
	v_bitop3_b32 v11, v1, 0xd8, v11 bitop3:0xc8
	v_dual_lshlrev_b32 v17, 3, v12 :: v_dual_lshrrev_b32 v12, 2, v13
	v_dual_lshrrev_b32 v13, 2, v14 :: v_dual_lshrrev_b32 v14, 2, v15
	s_delay_alu instid0(VALU_DEP_3) | instskip(NEXT) | instid1(VALU_DEP_3)
	v_lshl_add_u32 v10, v10, 5, v11
	v_add_nc_u32_e32 v11, v16, v17
	s_delay_alu instid0(VALU_DEP_3) | instskip(NEXT) | instid1(VALU_DEP_4)
	v_dual_add_nc_u32 v12, v12, v17 :: v_dual_add_nc_u32 v13, v13, v17
	v_add_nc_u32_e32 v14, v14, v17
.LBB75_1:                               ; =>This Inner Loop Header: Depth=1
	s_wait_loadcnt 0x0
	ds_store_2addr_b64 v10, v[6:7], v[8:9] offset1:1
	ds_store_2addr_b64 v10, v[2:3], v[4:5] offset0:2 offset1:3
	; wave barrier
	ds_load_b64 v[6:7], v11
	ds_load_b64 v[8:9], v12 offset:512
	ds_load_b64 v[2:3], v13 offset:1024
	;; [unrolled: 1-line block ×3, first 2 shown]
	s_add_co_i32 s4, s4, -1
	s_wait_dscnt 0x0
	s_cmp_lg_u32 s4, 0
	s_barrier_signal -1
	s_barrier_wait -1
	s_cbranch_scc1 .LBB75_1
; %bb.2:
	s_load_b64 s[0:1], s[0:1], 0x10
	v_dual_mov_b32 v11, 0 :: v_dual_lshlrev_b32 v10, 3, v1
	s_wait_kmcnt 0x0
	s_add_nc_u64 s[0:1], s[0:1], s[2:3]
	s_delay_alu instid0(VALU_DEP_1) | instid1(SALU_CYCLE_1)
	v_add_nc_u64_e32 v[12:13], s[0:1], v[10:11]
	v_lshlrev_b32_e32 v10, 3, v0
	s_delay_alu instid0(VALU_DEP_1)
	v_add_nc_u64_e32 v[0:1], v[12:13], v[10:11]
	s_clause 0x3
	global_store_b64 v[0:1], v[6:7], off
	global_store_b64 v[0:1], v[8:9], off offset:512
	global_store_b64 v[0:1], v[2:3], off offset:1024
	;; [unrolled: 1-line block ×3, first 2 shown]
	s_endpgm
	.section	.rodata,"a",@progbits
	.p2align	6, 0x0
	.amdhsa_kernel _Z6kernelI23blocked_to_warp_stripedxLj256ELj4ELj100EEvPKT0_PKjPS1_
		.amdhsa_group_segment_fixed_size 8448
		.amdhsa_private_segment_fixed_size 0
		.amdhsa_kernarg_size 24
		.amdhsa_user_sgpr_count 2
		.amdhsa_user_sgpr_dispatch_ptr 0
		.amdhsa_user_sgpr_queue_ptr 0
		.amdhsa_user_sgpr_kernarg_segment_ptr 1
		.amdhsa_user_sgpr_dispatch_id 0
		.amdhsa_user_sgpr_kernarg_preload_length 0
		.amdhsa_user_sgpr_kernarg_preload_offset 0
		.amdhsa_user_sgpr_private_segment_size 0
		.amdhsa_wavefront_size32 1
		.amdhsa_uses_dynamic_stack 0
		.amdhsa_enable_private_segment 0
		.amdhsa_system_sgpr_workgroup_id_x 1
		.amdhsa_system_sgpr_workgroup_id_y 0
		.amdhsa_system_sgpr_workgroup_id_z 0
		.amdhsa_system_sgpr_workgroup_info 0
		.amdhsa_system_vgpr_workitem_id 0
		.amdhsa_next_free_vgpr 18
		.amdhsa_next_free_sgpr 7
		.amdhsa_named_barrier_count 0
		.amdhsa_reserve_vcc 0
		.amdhsa_float_round_mode_32 0
		.amdhsa_float_round_mode_16_64 0
		.amdhsa_float_denorm_mode_32 3
		.amdhsa_float_denorm_mode_16_64 3
		.amdhsa_fp16_overflow 0
		.amdhsa_memory_ordered 1
		.amdhsa_forward_progress 1
		.amdhsa_inst_pref_size 4
		.amdhsa_round_robin_scheduling 0
		.amdhsa_exception_fp_ieee_invalid_op 0
		.amdhsa_exception_fp_denorm_src 0
		.amdhsa_exception_fp_ieee_div_zero 0
		.amdhsa_exception_fp_ieee_overflow 0
		.amdhsa_exception_fp_ieee_underflow 0
		.amdhsa_exception_fp_ieee_inexact 0
		.amdhsa_exception_int_div_zero 0
	.end_amdhsa_kernel
	.section	.text._Z6kernelI23blocked_to_warp_stripedxLj256ELj4ELj100EEvPKT0_PKjPS1_,"axG",@progbits,_Z6kernelI23blocked_to_warp_stripedxLj256ELj4ELj100EEvPKT0_PKjPS1_,comdat
.Lfunc_end75:
	.size	_Z6kernelI23blocked_to_warp_stripedxLj256ELj4ELj100EEvPKT0_PKjPS1_, .Lfunc_end75-_Z6kernelI23blocked_to_warp_stripedxLj256ELj4ELj100EEvPKT0_PKjPS1_
                                        ; -- End function
	.set _Z6kernelI23blocked_to_warp_stripedxLj256ELj4ELj100EEvPKT0_PKjPS1_.num_vgpr, 18
	.set _Z6kernelI23blocked_to_warp_stripedxLj256ELj4ELj100EEvPKT0_PKjPS1_.num_agpr, 0
	.set _Z6kernelI23blocked_to_warp_stripedxLj256ELj4ELj100EEvPKT0_PKjPS1_.numbered_sgpr, 7
	.set _Z6kernelI23blocked_to_warp_stripedxLj256ELj4ELj100EEvPKT0_PKjPS1_.num_named_barrier, 0
	.set _Z6kernelI23blocked_to_warp_stripedxLj256ELj4ELj100EEvPKT0_PKjPS1_.private_seg_size, 0
	.set _Z6kernelI23blocked_to_warp_stripedxLj256ELj4ELj100EEvPKT0_PKjPS1_.uses_vcc, 0
	.set _Z6kernelI23blocked_to_warp_stripedxLj256ELj4ELj100EEvPKT0_PKjPS1_.uses_flat_scratch, 0
	.set _Z6kernelI23blocked_to_warp_stripedxLj256ELj4ELj100EEvPKT0_PKjPS1_.has_dyn_sized_stack, 0
	.set _Z6kernelI23blocked_to_warp_stripedxLj256ELj4ELj100EEvPKT0_PKjPS1_.has_recursion, 0
	.set _Z6kernelI23blocked_to_warp_stripedxLj256ELj4ELj100EEvPKT0_PKjPS1_.has_indirect_call, 0
	.section	.AMDGPU.csdata,"",@progbits
; Kernel info:
; codeLenInByte = 428
; TotalNumSgprs: 7
; NumVgprs: 18
; ScratchSize: 0
; MemoryBound: 0
; FloatMode: 240
; IeeeMode: 1
; LDSByteSize: 8448 bytes/workgroup (compile time only)
; SGPRBlocks: 0
; VGPRBlocks: 1
; NumSGPRsForWavesPerEU: 7
; NumVGPRsForWavesPerEU: 18
; NamedBarCnt: 0
; Occupancy: 16
; WaveLimiterHint : 1
; COMPUTE_PGM_RSRC2:SCRATCH_EN: 0
; COMPUTE_PGM_RSRC2:USER_SGPR: 2
; COMPUTE_PGM_RSRC2:TRAP_HANDLER: 0
; COMPUTE_PGM_RSRC2:TGID_X_EN: 1
; COMPUTE_PGM_RSRC2:TGID_Y_EN: 0
; COMPUTE_PGM_RSRC2:TGID_Z_EN: 0
; COMPUTE_PGM_RSRC2:TIDIG_COMP_CNT: 0
	.section	.text._Z6kernelI23blocked_to_warp_stripedxLj256ELj7ELj100EEvPKT0_PKjPS1_,"axG",@progbits,_Z6kernelI23blocked_to_warp_stripedxLj256ELj7ELj100EEvPKT0_PKjPS1_,comdat
	.protected	_Z6kernelI23blocked_to_warp_stripedxLj256ELj7ELj100EEvPKT0_PKjPS1_ ; -- Begin function _Z6kernelI23blocked_to_warp_stripedxLj256ELj7ELj100EEvPKT0_PKjPS1_
	.globl	_Z6kernelI23blocked_to_warp_stripedxLj256ELj7ELj100EEvPKT0_PKjPS1_
	.p2align	8
	.type	_Z6kernelI23blocked_to_warp_stripedxLj256ELj7ELj100EEvPKT0_PKjPS1_,@function
_Z6kernelI23blocked_to_warp_stripedxLj256ELj7ELj100EEvPKT0_PKjPS1_: ; @_Z6kernelI23blocked_to_warp_stripedxLj256ELj7ELj100EEvPKT0_PKjPS1_
; %bb.0:
	s_load_b64 s[4:5], s[0:1], 0x0
	s_bfe_u32 s2, ttmp6, 0x4000c
	s_and_b32 s3, ttmp6, 15
	s_add_co_i32 s2, s2, 1
	s_getreg_b32 s6, hwreg(HW_REG_IB_STS2, 6, 4)
	s_mul_i32 s2, ttmp9, s2
	v_mul_u32_u24_e32 v1, 7, v0
	s_add_co_i32 s3, s3, s2
	s_cmp_eq_u32 s6, 0
	s_cselect_b32 s2, ttmp9, s3
	s_mov_b32 s3, 0
	s_mulk_i32 s2, 0x700
	v_lshlrev_b32_e32 v16, 3, v1
	s_lshl_b64 s[2:3], s[2:3], 3
	s_wait_kmcnt 0x0
	s_add_nc_u64 s[4:5], s[4:5], s[2:3]
	s_clause 0x3
	global_load_b128 v[2:5], v16, s[4:5] offset:32
	global_load_b128 v[6:9], v16, s[4:5] offset:16
	global_load_b64 v[14:15], v1, s[4:5] offset:48 scale_offset
	global_load_b128 v[10:13], v16, s[4:5]
	s_wait_xcnt 0x1
	v_lshrrev_b32_e32 v1, 6, v0
	s_wait_xcnt 0x0
	s_movk_i32 s4, 0x64
	s_delay_alu instid0(VALU_DEP_1) | instskip(SKIP_1) | instid1(VALU_DEP_2)
	v_mul_u32_u24_e32 v16, 0x1c0, v1
	v_mbcnt_lo_u32_b32 v1, -1, 0
	v_lshlrev_b32_e32 v17, 3, v16
	s_delay_alu instid0(VALU_DEP_1)
	v_mad_u32_u24 v16, v1, 56, v17
	v_lshl_or_b32 v17, v1, 3, v17
.LBB76_1:                               ; =>This Inner Loop Header: Depth=1
	s_wait_loadcnt 0x0
	ds_store_2addr_b64 v16, v[10:11], v[12:13] offset1:1
	ds_store_2addr_b64 v16, v[6:7], v[8:9] offset0:2 offset1:3
	ds_store_2addr_b64 v16, v[2:3], v[4:5] offset0:4 offset1:5
	ds_store_b64 v16, v[14:15] offset:48
	; wave barrier
	ds_load_2addr_stride64_b64 v[10:13], v17 offset1:1
	ds_load_2addr_stride64_b64 v[6:9], v17 offset0:2 offset1:3
	ds_load_2addr_stride64_b64 v[2:5], v17 offset0:4 offset1:5
	ds_load_b64 v[14:15], v17 offset:3072
	s_add_co_i32 s4, s4, -1
	s_wait_dscnt 0x0
	s_cmp_lg_u32 s4, 0
	s_barrier_signal -1
	s_barrier_wait -1
	s_cbranch_scc1 .LBB76_1
; %bb.2:
	s_load_b64 s[0:1], s[0:1], 0x10
	v_and_b32_e32 v16, 0xc0, v0
	v_dual_mov_b32 v1, 0 :: v_dual_lshlrev_b32 v0, 3, v1
	s_delay_alu instid0(VALU_DEP_2)
	v_mul_u32_u24_e32 v18, 7, v16
	s_wait_kmcnt 0x0
	s_add_nc_u64 s[0:1], s[0:1], s[2:3]
	s_delay_alu instid0(VALU_DEP_2) | instid1(SALU_CYCLE_1)
	v_add_nc_u64_e32 v[16:17], s[0:1], v[0:1]
	s_delay_alu instid0(VALU_DEP_2) | instskip(NEXT) | instid1(VALU_DEP_1)
	v_lshlrev_b32_e32 v0, 3, v18
	v_add_nc_u64_e32 v[0:1], v[16:17], v[0:1]
	s_clause 0x6
	global_store_b64 v[0:1], v[10:11], off
	global_store_b64 v[0:1], v[12:13], off offset:512
	global_store_b64 v[0:1], v[6:7], off offset:1024
	;; [unrolled: 1-line block ×6, first 2 shown]
	s_endpgm
	.section	.rodata,"a",@progbits
	.p2align	6, 0x0
	.amdhsa_kernel _Z6kernelI23blocked_to_warp_stripedxLj256ELj7ELj100EEvPKT0_PKjPS1_
		.amdhsa_group_segment_fixed_size 14336
		.amdhsa_private_segment_fixed_size 0
		.amdhsa_kernarg_size 24
		.amdhsa_user_sgpr_count 2
		.amdhsa_user_sgpr_dispatch_ptr 0
		.amdhsa_user_sgpr_queue_ptr 0
		.amdhsa_user_sgpr_kernarg_segment_ptr 1
		.amdhsa_user_sgpr_dispatch_id 0
		.amdhsa_user_sgpr_kernarg_preload_length 0
		.amdhsa_user_sgpr_kernarg_preload_offset 0
		.amdhsa_user_sgpr_private_segment_size 0
		.amdhsa_wavefront_size32 1
		.amdhsa_uses_dynamic_stack 0
		.amdhsa_enable_private_segment 0
		.amdhsa_system_sgpr_workgroup_id_x 1
		.amdhsa_system_sgpr_workgroup_id_y 0
		.amdhsa_system_sgpr_workgroup_id_z 0
		.amdhsa_system_sgpr_workgroup_info 0
		.amdhsa_system_vgpr_workitem_id 0
		.amdhsa_next_free_vgpr 19
		.amdhsa_next_free_sgpr 7
		.amdhsa_named_barrier_count 0
		.amdhsa_reserve_vcc 0
		.amdhsa_float_round_mode_32 0
		.amdhsa_float_round_mode_16_64 0
		.amdhsa_float_denorm_mode_32 3
		.amdhsa_float_denorm_mode_16_64 3
		.amdhsa_fp16_overflow 0
		.amdhsa_memory_ordered 1
		.amdhsa_forward_progress 1
		.amdhsa_inst_pref_size 4
		.amdhsa_round_robin_scheduling 0
		.amdhsa_exception_fp_ieee_invalid_op 0
		.amdhsa_exception_fp_denorm_src 0
		.amdhsa_exception_fp_ieee_div_zero 0
		.amdhsa_exception_fp_ieee_overflow 0
		.amdhsa_exception_fp_ieee_underflow 0
		.amdhsa_exception_fp_ieee_inexact 0
		.amdhsa_exception_int_div_zero 0
	.end_amdhsa_kernel
	.section	.text._Z6kernelI23blocked_to_warp_stripedxLj256ELj7ELj100EEvPKT0_PKjPS1_,"axG",@progbits,_Z6kernelI23blocked_to_warp_stripedxLj256ELj7ELj100EEvPKT0_PKjPS1_,comdat
.Lfunc_end76:
	.size	_Z6kernelI23blocked_to_warp_stripedxLj256ELj7ELj100EEvPKT0_PKjPS1_, .Lfunc_end76-_Z6kernelI23blocked_to_warp_stripedxLj256ELj7ELj100EEvPKT0_PKjPS1_
                                        ; -- End function
	.set _Z6kernelI23blocked_to_warp_stripedxLj256ELj7ELj100EEvPKT0_PKjPS1_.num_vgpr, 19
	.set _Z6kernelI23blocked_to_warp_stripedxLj256ELj7ELj100EEvPKT0_PKjPS1_.num_agpr, 0
	.set _Z6kernelI23blocked_to_warp_stripedxLj256ELj7ELj100EEvPKT0_PKjPS1_.numbered_sgpr, 7
	.set _Z6kernelI23blocked_to_warp_stripedxLj256ELj7ELj100EEvPKT0_PKjPS1_.num_named_barrier, 0
	.set _Z6kernelI23blocked_to_warp_stripedxLj256ELj7ELj100EEvPKT0_PKjPS1_.private_seg_size, 0
	.set _Z6kernelI23blocked_to_warp_stripedxLj256ELj7ELj100EEvPKT0_PKjPS1_.uses_vcc, 0
	.set _Z6kernelI23blocked_to_warp_stripedxLj256ELj7ELj100EEvPKT0_PKjPS1_.uses_flat_scratch, 0
	.set _Z6kernelI23blocked_to_warp_stripedxLj256ELj7ELj100EEvPKT0_PKjPS1_.has_dyn_sized_stack, 0
	.set _Z6kernelI23blocked_to_warp_stripedxLj256ELj7ELj100EEvPKT0_PKjPS1_.has_recursion, 0
	.set _Z6kernelI23blocked_to_warp_stripedxLj256ELj7ELj100EEvPKT0_PKjPS1_.has_indirect_call, 0
	.section	.AMDGPU.csdata,"",@progbits
; Kernel info:
; codeLenInByte = 428
; TotalNumSgprs: 7
; NumVgprs: 19
; ScratchSize: 0
; MemoryBound: 0
; FloatMode: 240
; IeeeMode: 1
; LDSByteSize: 14336 bytes/workgroup (compile time only)
; SGPRBlocks: 0
; VGPRBlocks: 1
; NumSGPRsForWavesPerEU: 7
; NumVGPRsForWavesPerEU: 19
; NamedBarCnt: 0
; Occupancy: 16
; WaveLimiterHint : 1
; COMPUTE_PGM_RSRC2:SCRATCH_EN: 0
; COMPUTE_PGM_RSRC2:USER_SGPR: 2
; COMPUTE_PGM_RSRC2:TRAP_HANDLER: 0
; COMPUTE_PGM_RSRC2:TGID_X_EN: 1
; COMPUTE_PGM_RSRC2:TGID_Y_EN: 0
; COMPUTE_PGM_RSRC2:TGID_Z_EN: 0
; COMPUTE_PGM_RSRC2:TIDIG_COMP_CNT: 0
	.section	.text._Z6kernelI23blocked_to_warp_stripedxLj256ELj8ELj100EEvPKT0_PKjPS1_,"axG",@progbits,_Z6kernelI23blocked_to_warp_stripedxLj256ELj8ELj100EEvPKT0_PKjPS1_,comdat
	.protected	_Z6kernelI23blocked_to_warp_stripedxLj256ELj8ELj100EEvPKT0_PKjPS1_ ; -- Begin function _Z6kernelI23blocked_to_warp_stripedxLj256ELj8ELj100EEvPKT0_PKjPS1_
	.globl	_Z6kernelI23blocked_to_warp_stripedxLj256ELj8ELj100EEvPKT0_PKjPS1_
	.p2align	8
	.type	_Z6kernelI23blocked_to_warp_stripedxLj256ELj8ELj100EEvPKT0_PKjPS1_,@function
_Z6kernelI23blocked_to_warp_stripedxLj256ELj8ELj100EEvPKT0_PKjPS1_: ; @_Z6kernelI23blocked_to_warp_stripedxLj256ELj8ELj100EEvPKT0_PKjPS1_
; %bb.0:
	s_load_b64 s[4:5], s[0:1], 0x0
	s_bfe_u32 s2, ttmp6, 0x4000c
	s_and_b32 s3, ttmp6, 15
	s_add_co_i32 s2, s2, 1
	s_getreg_b32 s6, hwreg(HW_REG_IB_STS2, 6, 4)
	s_mul_i32 s2, ttmp9, s2
	v_dual_lshlrev_b32 v1, 6, v0 :: v_dual_lshlrev_b32 v18, 3, v0
	s_add_co_i32 s3, s3, s2
	s_cmp_eq_u32 s6, 0
	s_cselect_b32 s2, ttmp9, s3
	s_mov_b32 s3, 0
	s_lshl_b32 s2, s2, 11
	s_delay_alu instid0(SALU_CYCLE_1)
	s_lshl_b64 s[2:3], s[2:3], 3
	s_wait_kmcnt 0x0
	s_add_nc_u64 s[4:5], s[4:5], s[2:3]
	s_clause 0x3
	global_load_b128 v[2:5], v1, s[4:5] offset:48
	global_load_b128 v[6:9], v1, s[4:5] offset:32
	;; [unrolled: 1-line block ×3, first 2 shown]
	global_load_b128 v[14:17], v1, s[4:5]
	s_wait_xcnt 0x0
	v_mbcnt_lo_u32_b32 v1, -1, 0
	s_movk_i32 s4, 0x64
	s_delay_alu instid0(VALU_DEP_1) | instskip(SKIP_1) | instid1(VALU_DEP_1)
	v_and_or_b32 v19, 0xc0, v0, v1
	v_and_b32_e32 v0, 0x600, v18
	v_dual_lshlrev_b32 v18, 1, v19 :: v_dual_bitop2_b32 v20, v1, v0 bitop3:0x54
	v_dual_lshrrev_b32 v23, 2, v0 :: v_dual_bitop2_b32 v21, 64, v0 bitop3:0x54
	v_or_b32_e32 v22, 0x80, v0
	s_delay_alu instid0(VALU_DEP_3) | instskip(NEXT) | instid1(VALU_DEP_3)
	v_and_b32_e32 v18, 0x1b8, v18
	v_dual_lshlrev_b32 v26, 3, v20 :: v_dual_lshrrev_b32 v20, 2, v21
	v_or_b32_e32 v24, 0x140, v0
	s_delay_alu instid0(VALU_DEP_4) | instskip(NEXT) | instid1(VALU_DEP_4)
	v_lshrrev_b32_e32 v21, 2, v22
	v_lshl_add_u32 v18, v19, 6, v18
	s_delay_alu instid0(VALU_DEP_4) | instskip(SKIP_4) | instid1(VALU_DEP_4)
	v_dual_add_nc_u32 v19, v23, v26 :: v_dual_add_nc_u32 v20, v20, v26
	v_or_b32_e32 v22, 0xc0, v0
	v_or_b32_e32 v23, 0x100, v0
	;; [unrolled: 1-line block ×4, first 2 shown]
	v_dual_lshrrev_b32 v24, 2, v24 :: v_dual_lshrrev_b32 v22, 2, v22
	s_delay_alu instid0(VALU_DEP_4) | instskip(NEXT) | instid1(VALU_DEP_3)
	v_dual_add_nc_u32 v21, v21, v26 :: v_dual_lshrrev_b32 v23, 2, v23
	v_dual_lshrrev_b32 v25, 2, v25 :: v_dual_lshrrev_b32 v27, 2, v27
	s_delay_alu instid0(VALU_DEP_3) | instskip(NEXT) | instid1(VALU_DEP_2)
	v_dual_add_nc_u32 v22, v22, v26 :: v_dual_add_nc_u32 v24, v24, v26
	v_dual_add_nc_u32 v23, v23, v26 :: v_dual_add_nc_u32 v25, v25, v26
	s_delay_alu instid0(VALU_DEP_3)
	v_add_nc_u32_e32 v26, v27, v26
.LBB77_1:                               ; =>This Inner Loop Header: Depth=1
	s_wait_loadcnt 0x0
	ds_store_2addr_b64 v18, v[14:15], v[16:17] offset1:1
	ds_store_2addr_b64 v18, v[10:11], v[12:13] offset0:2 offset1:3
	ds_store_2addr_b64 v18, v[6:7], v[8:9] offset0:4 offset1:5
	;; [unrolled: 1-line block ×3, first 2 shown]
	; wave barrier
	ds_load_b64 v[14:15], v19
	ds_load_b64 v[16:17], v20 offset:512
	ds_load_b64 v[10:11], v21 offset:1024
	;; [unrolled: 1-line block ×7, first 2 shown]
	s_add_co_i32 s4, s4, -1
	s_wait_dscnt 0x0
	s_cmp_lg_u32 s4, 0
	s_barrier_signal -1
	s_barrier_wait -1
	s_cbranch_scc1 .LBB77_1
; %bb.2:
	s_load_b64 s[0:1], s[0:1], 0x10
	v_dual_mov_b32 v19, 0 :: v_dual_lshlrev_b32 v18, 3, v1
	s_wait_kmcnt 0x0
	s_add_nc_u64 s[0:1], s[0:1], s[2:3]
	s_delay_alu instid0(VALU_DEP_1) | instid1(SALU_CYCLE_1)
	v_add_nc_u64_e32 v[20:21], s[0:1], v[18:19]
	v_lshlrev_b32_e32 v18, 3, v0
	s_delay_alu instid0(VALU_DEP_1)
	v_add_nc_u64_e32 v[0:1], v[20:21], v[18:19]
	s_clause 0x7
	global_store_b64 v[0:1], v[14:15], off
	global_store_b64 v[0:1], v[16:17], off offset:512
	global_store_b64 v[0:1], v[10:11], off offset:1024
	global_store_b64 v[0:1], v[12:13], off offset:1536
	global_store_b64 v[0:1], v[6:7], off offset:2048
	global_store_b64 v[0:1], v[8:9], off offset:2560
	global_store_b64 v[0:1], v[2:3], off offset:3072
	global_store_b64 v[0:1], v[4:5], off offset:3584
	s_endpgm
	.section	.rodata,"a",@progbits
	.p2align	6, 0x0
	.amdhsa_kernel _Z6kernelI23blocked_to_warp_stripedxLj256ELj8ELj100EEvPKT0_PKjPS1_
		.amdhsa_group_segment_fixed_size 16896
		.amdhsa_private_segment_fixed_size 0
		.amdhsa_kernarg_size 24
		.amdhsa_user_sgpr_count 2
		.amdhsa_user_sgpr_dispatch_ptr 0
		.amdhsa_user_sgpr_queue_ptr 0
		.amdhsa_user_sgpr_kernarg_segment_ptr 1
		.amdhsa_user_sgpr_dispatch_id 0
		.amdhsa_user_sgpr_kernarg_preload_length 0
		.amdhsa_user_sgpr_kernarg_preload_offset 0
		.amdhsa_user_sgpr_private_segment_size 0
		.amdhsa_wavefront_size32 1
		.amdhsa_uses_dynamic_stack 0
		.amdhsa_enable_private_segment 0
		.amdhsa_system_sgpr_workgroup_id_x 1
		.amdhsa_system_sgpr_workgroup_id_y 0
		.amdhsa_system_sgpr_workgroup_id_z 0
		.amdhsa_system_sgpr_workgroup_info 0
		.amdhsa_system_vgpr_workitem_id 0
		.amdhsa_next_free_vgpr 28
		.amdhsa_next_free_sgpr 7
		.amdhsa_named_barrier_count 0
		.amdhsa_reserve_vcc 0
		.amdhsa_float_round_mode_32 0
		.amdhsa_float_round_mode_16_64 0
		.amdhsa_float_denorm_mode_32 3
		.amdhsa_float_denorm_mode_16_64 3
		.amdhsa_fp16_overflow 0
		.amdhsa_memory_ordered 1
		.amdhsa_forward_progress 1
		.amdhsa_inst_pref_size 6
		.amdhsa_round_robin_scheduling 0
		.amdhsa_exception_fp_ieee_invalid_op 0
		.amdhsa_exception_fp_denorm_src 0
		.amdhsa_exception_fp_ieee_div_zero 0
		.amdhsa_exception_fp_ieee_overflow 0
		.amdhsa_exception_fp_ieee_underflow 0
		.amdhsa_exception_fp_ieee_inexact 0
		.amdhsa_exception_int_div_zero 0
	.end_amdhsa_kernel
	.section	.text._Z6kernelI23blocked_to_warp_stripedxLj256ELj8ELj100EEvPKT0_PKjPS1_,"axG",@progbits,_Z6kernelI23blocked_to_warp_stripedxLj256ELj8ELj100EEvPKT0_PKjPS1_,comdat
.Lfunc_end77:
	.size	_Z6kernelI23blocked_to_warp_stripedxLj256ELj8ELj100EEvPKT0_PKjPS1_, .Lfunc_end77-_Z6kernelI23blocked_to_warp_stripedxLj256ELj8ELj100EEvPKT0_PKjPS1_
                                        ; -- End function
	.set _Z6kernelI23blocked_to_warp_stripedxLj256ELj8ELj100EEvPKT0_PKjPS1_.num_vgpr, 28
	.set _Z6kernelI23blocked_to_warp_stripedxLj256ELj8ELj100EEvPKT0_PKjPS1_.num_agpr, 0
	.set _Z6kernelI23blocked_to_warp_stripedxLj256ELj8ELj100EEvPKT0_PKjPS1_.numbered_sgpr, 7
	.set _Z6kernelI23blocked_to_warp_stripedxLj256ELj8ELj100EEvPKT0_PKjPS1_.num_named_barrier, 0
	.set _Z6kernelI23blocked_to_warp_stripedxLj256ELj8ELj100EEvPKT0_PKjPS1_.private_seg_size, 0
	.set _Z6kernelI23blocked_to_warp_stripedxLj256ELj8ELj100EEvPKT0_PKjPS1_.uses_vcc, 0
	.set _Z6kernelI23blocked_to_warp_stripedxLj256ELj8ELj100EEvPKT0_PKjPS1_.uses_flat_scratch, 0
	.set _Z6kernelI23blocked_to_warp_stripedxLj256ELj8ELj100EEvPKT0_PKjPS1_.has_dyn_sized_stack, 0
	.set _Z6kernelI23blocked_to_warp_stripedxLj256ELj8ELj100EEvPKT0_PKjPS1_.has_recursion, 0
	.set _Z6kernelI23blocked_to_warp_stripedxLj256ELj8ELj100EEvPKT0_PKjPS1_.has_indirect_call, 0
	.section	.AMDGPU.csdata,"",@progbits
; Kernel info:
; codeLenInByte = 648
; TotalNumSgprs: 7
; NumVgprs: 28
; ScratchSize: 0
; MemoryBound: 0
; FloatMode: 240
; IeeeMode: 1
; LDSByteSize: 16896 bytes/workgroup (compile time only)
; SGPRBlocks: 0
; VGPRBlocks: 1
; NumSGPRsForWavesPerEU: 7
; NumVGPRsForWavesPerEU: 28
; NamedBarCnt: 0
; Occupancy: 16
; WaveLimiterHint : 1
; COMPUTE_PGM_RSRC2:SCRATCH_EN: 0
; COMPUTE_PGM_RSRC2:USER_SGPR: 2
; COMPUTE_PGM_RSRC2:TRAP_HANDLER: 0
; COMPUTE_PGM_RSRC2:TGID_X_EN: 1
; COMPUTE_PGM_RSRC2:TGID_Y_EN: 0
; COMPUTE_PGM_RSRC2:TGID_Z_EN: 0
; COMPUTE_PGM_RSRC2:TIDIG_COMP_CNT: 0
	.section	.text._Z6kernelI23blocked_to_warp_stripedN15benchmark_utils11custom_typeIffEELj256ELj1ELj100EEvPKT0_PKjPS4_,"axG",@progbits,_Z6kernelI23blocked_to_warp_stripedN15benchmark_utils11custom_typeIffEELj256ELj1ELj100EEvPKT0_PKjPS4_,comdat
	.protected	_Z6kernelI23blocked_to_warp_stripedN15benchmark_utils11custom_typeIffEELj256ELj1ELj100EEvPKT0_PKjPS4_ ; -- Begin function _Z6kernelI23blocked_to_warp_stripedN15benchmark_utils11custom_typeIffEELj256ELj1ELj100EEvPKT0_PKjPS4_
	.globl	_Z6kernelI23blocked_to_warp_stripedN15benchmark_utils11custom_typeIffEELj256ELj1ELj100EEvPKT0_PKjPS4_
	.p2align	8
	.type	_Z6kernelI23blocked_to_warp_stripedN15benchmark_utils11custom_typeIffEELj256ELj1ELj100EEvPKT0_PKjPS4_,@function
_Z6kernelI23blocked_to_warp_stripedN15benchmark_utils11custom_typeIffEELj256ELj1ELj100EEvPKT0_PKjPS4_: ; @_Z6kernelI23blocked_to_warp_stripedN15benchmark_utils11custom_typeIffEELj256ELj1ELj100EEvPKT0_PKjPS4_
; %bb.0:
	s_load_b64 s[4:5], s[0:1], 0x0
	s_bfe_u32 s2, ttmp6, 0x4000c
	s_and_b32 s3, ttmp6, 15
	s_add_co_i32 s2, s2, 1
	s_getreg_b32 s6, hwreg(HW_REG_IB_STS2, 6, 4)
	s_mul_i32 s2, ttmp9, s2
	v_mbcnt_lo_u32_b32 v1, -1, 0
	s_add_co_i32 s3, s3, s2
	s_cmp_eq_u32 s6, 0
	s_cselect_b32 s2, ttmp9, s3
	s_mov_b32 s3, 0
	s_lshl_b32 s2, s2, 8
	s_delay_alu instid0(SALU_CYCLE_1)
	s_lshl_b64 s[2:3], s[2:3], 3
	s_wait_kmcnt 0x0
	s_add_nc_u64 s[4:5], s[4:5], s[2:3]
	global_load_b64 v[2:3], v0, s[4:5] scale_offset
	s_wait_xcnt 0x0
	v_and_b32_e32 v0, 0xc0, v0
	s_movk_i32 s4, 0x64
	s_delay_alu instid0(VALU_DEP_1) | instskip(NEXT) | instid1(VALU_DEP_1)
	v_or_b32_e32 v4, v1, v0
	v_lshlrev_b32_e32 v4, 3, v4
.LBB78_1:                               ; =>This Inner Loop Header: Depth=1
	s_wait_loadcnt 0x0
	ds_store_b64 v4, v[2:3]
	; wave barrier
	ds_load_b64 v[2:3], v4
	s_add_co_i32 s4, s4, -1
	s_wait_dscnt 0x0
	s_cmp_lg_u32 s4, 0
	s_barrier_signal -1
	s_barrier_wait -1
	s_cbranch_scc1 .LBB78_1
; %bb.2:
	s_load_b64 s[0:1], s[0:1], 0x10
	v_dual_mov_b32 v5, 0 :: v_dual_lshlrev_b32 v4, 3, v1
	s_wait_kmcnt 0x0
	s_add_nc_u64 s[0:1], s[0:1], s[2:3]
	s_delay_alu instid0(VALU_DEP_1) | instid1(SALU_CYCLE_1)
	v_add_nc_u64_e32 v[6:7], s[0:1], v[4:5]
	v_lshlrev_b32_e32 v4, 3, v0
	s_delay_alu instid0(VALU_DEP_1)
	v_add_nc_u64_e32 v[0:1], v[6:7], v[4:5]
	global_store_b64 v[0:1], v[2:3], off
	s_endpgm
	.section	.rodata,"a",@progbits
	.p2align	6, 0x0
	.amdhsa_kernel _Z6kernelI23blocked_to_warp_stripedN15benchmark_utils11custom_typeIffEELj256ELj1ELj100EEvPKT0_PKjPS4_
		.amdhsa_group_segment_fixed_size 2048
		.amdhsa_private_segment_fixed_size 0
		.amdhsa_kernarg_size 24
		.amdhsa_user_sgpr_count 2
		.amdhsa_user_sgpr_dispatch_ptr 0
		.amdhsa_user_sgpr_queue_ptr 0
		.amdhsa_user_sgpr_kernarg_segment_ptr 1
		.amdhsa_user_sgpr_dispatch_id 0
		.amdhsa_user_sgpr_kernarg_preload_length 0
		.amdhsa_user_sgpr_kernarg_preload_offset 0
		.amdhsa_user_sgpr_private_segment_size 0
		.amdhsa_wavefront_size32 1
		.amdhsa_uses_dynamic_stack 0
		.amdhsa_enable_private_segment 0
		.amdhsa_system_sgpr_workgroup_id_x 1
		.amdhsa_system_sgpr_workgroup_id_y 0
		.amdhsa_system_sgpr_workgroup_id_z 0
		.amdhsa_system_sgpr_workgroup_info 0
		.amdhsa_system_vgpr_workitem_id 0
		.amdhsa_next_free_vgpr 8
		.amdhsa_next_free_sgpr 7
		.amdhsa_named_barrier_count 0
		.amdhsa_reserve_vcc 0
		.amdhsa_float_round_mode_32 0
		.amdhsa_float_round_mode_16_64 0
		.amdhsa_float_denorm_mode_32 3
		.amdhsa_float_denorm_mode_16_64 3
		.amdhsa_fp16_overflow 0
		.amdhsa_memory_ordered 1
		.amdhsa_forward_progress 1
		.amdhsa_inst_pref_size 2
		.amdhsa_round_robin_scheduling 0
		.amdhsa_exception_fp_ieee_invalid_op 0
		.amdhsa_exception_fp_denorm_src 0
		.amdhsa_exception_fp_ieee_div_zero 0
		.amdhsa_exception_fp_ieee_overflow 0
		.amdhsa_exception_fp_ieee_underflow 0
		.amdhsa_exception_fp_ieee_inexact 0
		.amdhsa_exception_int_div_zero 0
	.end_amdhsa_kernel
	.section	.text._Z6kernelI23blocked_to_warp_stripedN15benchmark_utils11custom_typeIffEELj256ELj1ELj100EEvPKT0_PKjPS4_,"axG",@progbits,_Z6kernelI23blocked_to_warp_stripedN15benchmark_utils11custom_typeIffEELj256ELj1ELj100EEvPKT0_PKjPS4_,comdat
.Lfunc_end78:
	.size	_Z6kernelI23blocked_to_warp_stripedN15benchmark_utils11custom_typeIffEELj256ELj1ELj100EEvPKT0_PKjPS4_, .Lfunc_end78-_Z6kernelI23blocked_to_warp_stripedN15benchmark_utils11custom_typeIffEELj256ELj1ELj100EEvPKT0_PKjPS4_
                                        ; -- End function
	.set _Z6kernelI23blocked_to_warp_stripedN15benchmark_utils11custom_typeIffEELj256ELj1ELj100EEvPKT0_PKjPS4_.num_vgpr, 8
	.set _Z6kernelI23blocked_to_warp_stripedN15benchmark_utils11custom_typeIffEELj256ELj1ELj100EEvPKT0_PKjPS4_.num_agpr, 0
	.set _Z6kernelI23blocked_to_warp_stripedN15benchmark_utils11custom_typeIffEELj256ELj1ELj100EEvPKT0_PKjPS4_.numbered_sgpr, 7
	.set _Z6kernelI23blocked_to_warp_stripedN15benchmark_utils11custom_typeIffEELj256ELj1ELj100EEvPKT0_PKjPS4_.num_named_barrier, 0
	.set _Z6kernelI23blocked_to_warp_stripedN15benchmark_utils11custom_typeIffEELj256ELj1ELj100EEvPKT0_PKjPS4_.private_seg_size, 0
	.set _Z6kernelI23blocked_to_warp_stripedN15benchmark_utils11custom_typeIffEELj256ELj1ELj100EEvPKT0_PKjPS4_.uses_vcc, 0
	.set _Z6kernelI23blocked_to_warp_stripedN15benchmark_utils11custom_typeIffEELj256ELj1ELj100EEvPKT0_PKjPS4_.uses_flat_scratch, 0
	.set _Z6kernelI23blocked_to_warp_stripedN15benchmark_utils11custom_typeIffEELj256ELj1ELj100EEvPKT0_PKjPS4_.has_dyn_sized_stack, 0
	.set _Z6kernelI23blocked_to_warp_stripedN15benchmark_utils11custom_typeIffEELj256ELj1ELj100EEvPKT0_PKjPS4_.has_recursion, 0
	.set _Z6kernelI23blocked_to_warp_stripedN15benchmark_utils11custom_typeIffEELj256ELj1ELj100EEvPKT0_PKjPS4_.has_indirect_call, 0
	.section	.AMDGPU.csdata,"",@progbits
; Kernel info:
; codeLenInByte = 220
; TotalNumSgprs: 7
; NumVgprs: 8
; ScratchSize: 0
; MemoryBound: 0
; FloatMode: 240
; IeeeMode: 1
; LDSByteSize: 2048 bytes/workgroup (compile time only)
; SGPRBlocks: 0
; VGPRBlocks: 0
; NumSGPRsForWavesPerEU: 7
; NumVGPRsForWavesPerEU: 8
; NamedBarCnt: 0
; Occupancy: 16
; WaveLimiterHint : 0
; COMPUTE_PGM_RSRC2:SCRATCH_EN: 0
; COMPUTE_PGM_RSRC2:USER_SGPR: 2
; COMPUTE_PGM_RSRC2:TRAP_HANDLER: 0
; COMPUTE_PGM_RSRC2:TGID_X_EN: 1
; COMPUTE_PGM_RSRC2:TGID_Y_EN: 0
; COMPUTE_PGM_RSRC2:TGID_Z_EN: 0
; COMPUTE_PGM_RSRC2:TIDIG_COMP_CNT: 0
	.section	.text._Z6kernelI23blocked_to_warp_stripedN15benchmark_utils11custom_typeIffEELj256ELj2ELj100EEvPKT0_PKjPS4_,"axG",@progbits,_Z6kernelI23blocked_to_warp_stripedN15benchmark_utils11custom_typeIffEELj256ELj2ELj100EEvPKT0_PKjPS4_,comdat
	.protected	_Z6kernelI23blocked_to_warp_stripedN15benchmark_utils11custom_typeIffEELj256ELj2ELj100EEvPKT0_PKjPS4_ ; -- Begin function _Z6kernelI23blocked_to_warp_stripedN15benchmark_utils11custom_typeIffEELj256ELj2ELj100EEvPKT0_PKjPS4_
	.globl	_Z6kernelI23blocked_to_warp_stripedN15benchmark_utils11custom_typeIffEELj256ELj2ELj100EEvPKT0_PKjPS4_
	.p2align	8
	.type	_Z6kernelI23blocked_to_warp_stripedN15benchmark_utils11custom_typeIffEELj256ELj2ELj100EEvPKT0_PKjPS4_,@function
_Z6kernelI23blocked_to_warp_stripedN15benchmark_utils11custom_typeIffEELj256ELj2ELj100EEvPKT0_PKjPS4_: ; @_Z6kernelI23blocked_to_warp_stripedN15benchmark_utils11custom_typeIffEELj256ELj2ELj100EEvPKT0_PKjPS4_
; %bb.0:
	s_load_b64 s[4:5], s[0:1], 0x0
	s_bfe_u32 s2, ttmp6, 0x4000c
	s_and_b32 s3, ttmp6, 15
	s_add_co_i32 s2, s2, 1
	s_getreg_b32 s6, hwreg(HW_REG_IB_STS2, 6, 4)
	s_mul_i32 s2, ttmp9, s2
	v_mbcnt_lo_u32_b32 v1, -1, 0
	s_add_co_i32 s3, s3, s2
	s_cmp_eq_u32 s6, 0
	v_lshlrev_b32_e32 v6, 1, v0
	s_cselect_b32 s2, ttmp9, s3
	s_mov_b32 s3, 0
	s_lshl_b32 s2, s2, 9
	v_and_or_b32 v7, 0xc0, v0, v1
	s_lshl_b64 s[2:3], s[2:3], 3
	s_wait_kmcnt 0x0
	s_add_nc_u64 s[4:5], s[4:5], s[2:3]
	global_load_b128 v[2:5], v0, s[4:5] scale_offset
	s_wait_xcnt 0x0
	v_and_b32_e32 v0, 0x180, v6
	v_lshrrev_b16 v6, 1, v7
	s_movk_i32 s4, 0x64
	s_delay_alu instid0(VALU_DEP_2) | instskip(SKIP_1) | instid1(VALU_DEP_3)
	v_or_b32_e32 v8, v1, v0
	v_dual_lshrrev_b32 v10, 2, v0 :: v_dual_bitop2_b32 v9, 64, v0 bitop3:0x54
	v_and_b32_e32 v6, 0x68, v6
	s_delay_alu instid0(VALU_DEP_2) | instskip(NEXT) | instid1(VALU_DEP_2)
	v_dual_lshlrev_b32 v8, 3, v8 :: v_dual_lshrrev_b32 v9, 2, v9
	v_lshl_add_u32 v6, v7, 4, v6
	s_delay_alu instid0(VALU_DEP_2)
	v_dual_add_nc_u32 v7, v10, v8 :: v_dual_add_nc_u32 v8, v9, v8
.LBB79_1:                               ; =>This Inner Loop Header: Depth=1
	s_wait_loadcnt 0x0
	ds_store_2addr_b64 v6, v[2:3], v[4:5] offset1:1
	; wave barrier
	ds_load_b64 v[2:3], v7
	ds_load_b64 v[4:5], v8 offset:512
	s_add_co_i32 s4, s4, -1
	s_wait_dscnt 0x0
	s_cmp_lg_u32 s4, 0
	s_barrier_signal -1
	s_barrier_wait -1
	s_cbranch_scc1 .LBB79_1
; %bb.2:
	s_load_b64 s[0:1], s[0:1], 0x10
	v_dual_mov_b32 v7, 0 :: v_dual_lshlrev_b32 v6, 3, v1
	s_wait_kmcnt 0x0
	s_add_nc_u64 s[0:1], s[0:1], s[2:3]
	s_delay_alu instid0(VALU_DEP_1) | instid1(SALU_CYCLE_1)
	v_add_nc_u64_e32 v[8:9], s[0:1], v[6:7]
	v_lshlrev_b32_e32 v6, 3, v0
	s_delay_alu instid0(VALU_DEP_1)
	v_add_nc_u64_e32 v[0:1], v[8:9], v[6:7]
	s_clause 0x1
	global_store_b64 v[0:1], v[2:3], off
	global_store_b64 v[0:1], v[4:5], off offset:512
	s_endpgm
	.section	.rodata,"a",@progbits
	.p2align	6, 0x0
	.amdhsa_kernel _Z6kernelI23blocked_to_warp_stripedN15benchmark_utils11custom_typeIffEELj256ELj2ELj100EEvPKT0_PKjPS4_
		.amdhsa_group_segment_fixed_size 4224
		.amdhsa_private_segment_fixed_size 0
		.amdhsa_kernarg_size 24
		.amdhsa_user_sgpr_count 2
		.amdhsa_user_sgpr_dispatch_ptr 0
		.amdhsa_user_sgpr_queue_ptr 0
		.amdhsa_user_sgpr_kernarg_segment_ptr 1
		.amdhsa_user_sgpr_dispatch_id 0
		.amdhsa_user_sgpr_kernarg_preload_length 0
		.amdhsa_user_sgpr_kernarg_preload_offset 0
		.amdhsa_user_sgpr_private_segment_size 0
		.amdhsa_wavefront_size32 1
		.amdhsa_uses_dynamic_stack 0
		.amdhsa_enable_private_segment 0
		.amdhsa_system_sgpr_workgroup_id_x 1
		.amdhsa_system_sgpr_workgroup_id_y 0
		.amdhsa_system_sgpr_workgroup_id_z 0
		.amdhsa_system_sgpr_workgroup_info 0
		.amdhsa_system_vgpr_workitem_id 0
		.amdhsa_next_free_vgpr 11
		.amdhsa_next_free_sgpr 7
		.amdhsa_named_barrier_count 0
		.amdhsa_reserve_vcc 0
		.amdhsa_float_round_mode_32 0
		.amdhsa_float_round_mode_16_64 0
		.amdhsa_float_denorm_mode_32 3
		.amdhsa_float_denorm_mode_16_64 3
		.amdhsa_fp16_overflow 0
		.amdhsa_memory_ordered 1
		.amdhsa_forward_progress 1
		.amdhsa_inst_pref_size 3
		.amdhsa_round_robin_scheduling 0
		.amdhsa_exception_fp_ieee_invalid_op 0
		.amdhsa_exception_fp_denorm_src 0
		.amdhsa_exception_fp_ieee_div_zero 0
		.amdhsa_exception_fp_ieee_overflow 0
		.amdhsa_exception_fp_ieee_underflow 0
		.amdhsa_exception_fp_ieee_inexact 0
		.amdhsa_exception_int_div_zero 0
	.end_amdhsa_kernel
	.section	.text._Z6kernelI23blocked_to_warp_stripedN15benchmark_utils11custom_typeIffEELj256ELj2ELj100EEvPKT0_PKjPS4_,"axG",@progbits,_Z6kernelI23blocked_to_warp_stripedN15benchmark_utils11custom_typeIffEELj256ELj2ELj100EEvPKT0_PKjPS4_,comdat
.Lfunc_end79:
	.size	_Z6kernelI23blocked_to_warp_stripedN15benchmark_utils11custom_typeIffEELj256ELj2ELj100EEvPKT0_PKjPS4_, .Lfunc_end79-_Z6kernelI23blocked_to_warp_stripedN15benchmark_utils11custom_typeIffEELj256ELj2ELj100EEvPKT0_PKjPS4_
                                        ; -- End function
	.set _Z6kernelI23blocked_to_warp_stripedN15benchmark_utils11custom_typeIffEELj256ELj2ELj100EEvPKT0_PKjPS4_.num_vgpr, 11
	.set _Z6kernelI23blocked_to_warp_stripedN15benchmark_utils11custom_typeIffEELj256ELj2ELj100EEvPKT0_PKjPS4_.num_agpr, 0
	.set _Z6kernelI23blocked_to_warp_stripedN15benchmark_utils11custom_typeIffEELj256ELj2ELj100EEvPKT0_PKjPS4_.numbered_sgpr, 7
	.set _Z6kernelI23blocked_to_warp_stripedN15benchmark_utils11custom_typeIffEELj256ELj2ELj100EEvPKT0_PKjPS4_.num_named_barrier, 0
	.set _Z6kernelI23blocked_to_warp_stripedN15benchmark_utils11custom_typeIffEELj256ELj2ELj100EEvPKT0_PKjPS4_.private_seg_size, 0
	.set _Z6kernelI23blocked_to_warp_stripedN15benchmark_utils11custom_typeIffEELj256ELj2ELj100EEvPKT0_PKjPS4_.uses_vcc, 0
	.set _Z6kernelI23blocked_to_warp_stripedN15benchmark_utils11custom_typeIffEELj256ELj2ELj100EEvPKT0_PKjPS4_.uses_flat_scratch, 0
	.set _Z6kernelI23blocked_to_warp_stripedN15benchmark_utils11custom_typeIffEELj256ELj2ELj100EEvPKT0_PKjPS4_.has_dyn_sized_stack, 0
	.set _Z6kernelI23blocked_to_warp_stripedN15benchmark_utils11custom_typeIffEELj256ELj2ELj100EEvPKT0_PKjPS4_.has_recursion, 0
	.set _Z6kernelI23blocked_to_warp_stripedN15benchmark_utils11custom_typeIffEELj256ELj2ELj100EEvPKT0_PKjPS4_.has_indirect_call, 0
	.section	.AMDGPU.csdata,"",@progbits
; Kernel info:
; codeLenInByte = 320
; TotalNumSgprs: 7
; NumVgprs: 11
; ScratchSize: 0
; MemoryBound: 0
; FloatMode: 240
; IeeeMode: 1
; LDSByteSize: 4224 bytes/workgroup (compile time only)
; SGPRBlocks: 0
; VGPRBlocks: 0
; NumSGPRsForWavesPerEU: 7
; NumVGPRsForWavesPerEU: 11
; NamedBarCnt: 0
; Occupancy: 16
; WaveLimiterHint : 1
; COMPUTE_PGM_RSRC2:SCRATCH_EN: 0
; COMPUTE_PGM_RSRC2:USER_SGPR: 2
; COMPUTE_PGM_RSRC2:TRAP_HANDLER: 0
; COMPUTE_PGM_RSRC2:TGID_X_EN: 1
; COMPUTE_PGM_RSRC2:TGID_Y_EN: 0
; COMPUTE_PGM_RSRC2:TGID_Z_EN: 0
; COMPUTE_PGM_RSRC2:TIDIG_COMP_CNT: 0
	.section	.text._Z6kernelI23blocked_to_warp_stripedN15benchmark_utils11custom_typeIffEELj256ELj3ELj100EEvPKT0_PKjPS4_,"axG",@progbits,_Z6kernelI23blocked_to_warp_stripedN15benchmark_utils11custom_typeIffEELj256ELj3ELj100EEvPKT0_PKjPS4_,comdat
	.protected	_Z6kernelI23blocked_to_warp_stripedN15benchmark_utils11custom_typeIffEELj256ELj3ELj100EEvPKT0_PKjPS4_ ; -- Begin function _Z6kernelI23blocked_to_warp_stripedN15benchmark_utils11custom_typeIffEELj256ELj3ELj100EEvPKT0_PKjPS4_
	.globl	_Z6kernelI23blocked_to_warp_stripedN15benchmark_utils11custom_typeIffEELj256ELj3ELj100EEvPKT0_PKjPS4_
	.p2align	8
	.type	_Z6kernelI23blocked_to_warp_stripedN15benchmark_utils11custom_typeIffEELj256ELj3ELj100EEvPKT0_PKjPS4_,@function
_Z6kernelI23blocked_to_warp_stripedN15benchmark_utils11custom_typeIffEELj256ELj3ELj100EEvPKT0_PKjPS4_: ; @_Z6kernelI23blocked_to_warp_stripedN15benchmark_utils11custom_typeIffEELj256ELj3ELj100EEvPKT0_PKjPS4_
; %bb.0:
	s_load_b64 s[4:5], s[0:1], 0x0
	s_bfe_u32 s2, ttmp6, 0x4000c
	s_and_b32 s3, ttmp6, 15
	s_add_co_i32 s2, s2, 1
	s_getreg_b32 s6, hwreg(HW_REG_IB_STS2, 6, 4)
	s_mul_i32 s2, ttmp9, s2
	v_mul_u32_u24_e32 v1, 3, v0
	s_add_co_i32 s3, s3, s2
	s_cmp_eq_u32 s6, 0
	s_cselect_b32 s2, ttmp9, s3
	s_mov_b32 s3, 0
	s_mulk_i32 s2, 0x300
	v_lshlrev_b32_e32 v8, 3, v1
	s_lshl_b64 s[2:3], s[2:3], 3
	s_wait_kmcnt 0x0
	s_add_nc_u64 s[4:5], s[4:5], s[2:3]
	s_clause 0x1
	global_load_b64 v[6:7], v1, s[4:5] offset:16 scale_offset
	global_load_b128 v[2:5], v8, s[4:5]
	s_wait_xcnt 0x1
	v_lshrrev_b32_e32 v1, 6, v0
	s_wait_xcnt 0x0
	s_movk_i32 s4, 0x64
	s_delay_alu instid0(VALU_DEP_1) | instskip(SKIP_1) | instid1(VALU_DEP_2)
	v_mul_u32_u24_e32 v8, 0xc0, v1
	v_mbcnt_lo_u32_b32 v1, -1, 0
	v_lshlrev_b32_e32 v9, 3, v8
	s_delay_alu instid0(VALU_DEP_1)
	v_mad_u32_u24 v8, v1, 24, v9
	v_lshl_or_b32 v9, v1, 3, v9
.LBB80_1:                               ; =>This Inner Loop Header: Depth=1
	s_wait_loadcnt 0x0
	ds_store_2addr_b64 v8, v[2:3], v[4:5] offset1:1
	ds_store_b64 v8, v[6:7] offset:16
	; wave barrier
	ds_load_2addr_stride64_b64 v[2:5], v9 offset1:1
	ds_load_b64 v[6:7], v9 offset:1024
	s_add_co_i32 s4, s4, -1
	s_wait_dscnt 0x0
	s_cmp_lg_u32 s4, 0
	s_barrier_signal -1
	s_barrier_wait -1
	s_cbranch_scc1 .LBB80_1
; %bb.2:
	s_load_b64 s[0:1], s[0:1], 0x10
	v_and_b32_e32 v8, 0xc0, v0
	v_dual_mov_b32 v1, 0 :: v_dual_lshlrev_b32 v0, 3, v1
	s_delay_alu instid0(VALU_DEP_2)
	v_mul_u32_u24_e32 v10, 3, v8
	s_wait_kmcnt 0x0
	s_add_nc_u64 s[0:1], s[0:1], s[2:3]
	s_delay_alu instid0(VALU_DEP_2) | instid1(SALU_CYCLE_1)
	v_add_nc_u64_e32 v[8:9], s[0:1], v[0:1]
	s_delay_alu instid0(VALU_DEP_2) | instskip(NEXT) | instid1(VALU_DEP_1)
	v_lshlrev_b32_e32 v0, 3, v10
	v_add_nc_u64_e32 v[0:1], v[8:9], v[0:1]
	s_clause 0x2
	global_store_b64 v[0:1], v[2:3], off
	global_store_b64 v[0:1], v[4:5], off offset:512
	global_store_b64 v[0:1], v[6:7], off offset:1024
	s_endpgm
	.section	.rodata,"a",@progbits
	.p2align	6, 0x0
	.amdhsa_kernel _Z6kernelI23blocked_to_warp_stripedN15benchmark_utils11custom_typeIffEELj256ELj3ELj100EEvPKT0_PKjPS4_
		.amdhsa_group_segment_fixed_size 6144
		.amdhsa_private_segment_fixed_size 0
		.amdhsa_kernarg_size 24
		.amdhsa_user_sgpr_count 2
		.amdhsa_user_sgpr_dispatch_ptr 0
		.amdhsa_user_sgpr_queue_ptr 0
		.amdhsa_user_sgpr_kernarg_segment_ptr 1
		.amdhsa_user_sgpr_dispatch_id 0
		.amdhsa_user_sgpr_kernarg_preload_length 0
		.amdhsa_user_sgpr_kernarg_preload_offset 0
		.amdhsa_user_sgpr_private_segment_size 0
		.amdhsa_wavefront_size32 1
		.amdhsa_uses_dynamic_stack 0
		.amdhsa_enable_private_segment 0
		.amdhsa_system_sgpr_workgroup_id_x 1
		.amdhsa_system_sgpr_workgroup_id_y 0
		.amdhsa_system_sgpr_workgroup_id_z 0
		.amdhsa_system_sgpr_workgroup_info 0
		.amdhsa_system_vgpr_workitem_id 0
		.amdhsa_next_free_vgpr 11
		.amdhsa_next_free_sgpr 7
		.amdhsa_named_barrier_count 0
		.amdhsa_reserve_vcc 0
		.amdhsa_float_round_mode_32 0
		.amdhsa_float_round_mode_16_64 0
		.amdhsa_float_denorm_mode_32 3
		.amdhsa_float_denorm_mode_16_64 3
		.amdhsa_fp16_overflow 0
		.amdhsa_memory_ordered 1
		.amdhsa_forward_progress 1
		.amdhsa_inst_pref_size 3
		.amdhsa_round_robin_scheduling 0
		.amdhsa_exception_fp_ieee_invalid_op 0
		.amdhsa_exception_fp_denorm_src 0
		.amdhsa_exception_fp_ieee_div_zero 0
		.amdhsa_exception_fp_ieee_overflow 0
		.amdhsa_exception_fp_ieee_underflow 0
		.amdhsa_exception_fp_ieee_inexact 0
		.amdhsa_exception_int_div_zero 0
	.end_amdhsa_kernel
	.section	.text._Z6kernelI23blocked_to_warp_stripedN15benchmark_utils11custom_typeIffEELj256ELj3ELj100EEvPKT0_PKjPS4_,"axG",@progbits,_Z6kernelI23blocked_to_warp_stripedN15benchmark_utils11custom_typeIffEELj256ELj3ELj100EEvPKT0_PKjPS4_,comdat
.Lfunc_end80:
	.size	_Z6kernelI23blocked_to_warp_stripedN15benchmark_utils11custom_typeIffEELj256ELj3ELj100EEvPKT0_PKjPS4_, .Lfunc_end80-_Z6kernelI23blocked_to_warp_stripedN15benchmark_utils11custom_typeIffEELj256ELj3ELj100EEvPKT0_PKjPS4_
                                        ; -- End function
	.set _Z6kernelI23blocked_to_warp_stripedN15benchmark_utils11custom_typeIffEELj256ELj3ELj100EEvPKT0_PKjPS4_.num_vgpr, 11
	.set _Z6kernelI23blocked_to_warp_stripedN15benchmark_utils11custom_typeIffEELj256ELj3ELj100EEvPKT0_PKjPS4_.num_agpr, 0
	.set _Z6kernelI23blocked_to_warp_stripedN15benchmark_utils11custom_typeIffEELj256ELj3ELj100EEvPKT0_PKjPS4_.numbered_sgpr, 7
	.set _Z6kernelI23blocked_to_warp_stripedN15benchmark_utils11custom_typeIffEELj256ELj3ELj100EEvPKT0_PKjPS4_.num_named_barrier, 0
	.set _Z6kernelI23blocked_to_warp_stripedN15benchmark_utils11custom_typeIffEELj256ELj3ELj100EEvPKT0_PKjPS4_.private_seg_size, 0
	.set _Z6kernelI23blocked_to_warp_stripedN15benchmark_utils11custom_typeIffEELj256ELj3ELj100EEvPKT0_PKjPS4_.uses_vcc, 0
	.set _Z6kernelI23blocked_to_warp_stripedN15benchmark_utils11custom_typeIffEELj256ELj3ELj100EEvPKT0_PKjPS4_.uses_flat_scratch, 0
	.set _Z6kernelI23blocked_to_warp_stripedN15benchmark_utils11custom_typeIffEELj256ELj3ELj100EEvPKT0_PKjPS4_.has_dyn_sized_stack, 0
	.set _Z6kernelI23blocked_to_warp_stripedN15benchmark_utils11custom_typeIffEELj256ELj3ELj100EEvPKT0_PKjPS4_.has_recursion, 0
	.set _Z6kernelI23blocked_to_warp_stripedN15benchmark_utils11custom_typeIffEELj256ELj3ELj100EEvPKT0_PKjPS4_.has_indirect_call, 0
	.section	.AMDGPU.csdata,"",@progbits
; Kernel info:
; codeLenInByte = 324
; TotalNumSgprs: 7
; NumVgprs: 11
; ScratchSize: 0
; MemoryBound: 0
; FloatMode: 240
; IeeeMode: 1
; LDSByteSize: 6144 bytes/workgroup (compile time only)
; SGPRBlocks: 0
; VGPRBlocks: 0
; NumSGPRsForWavesPerEU: 7
; NumVGPRsForWavesPerEU: 11
; NamedBarCnt: 0
; Occupancy: 16
; WaveLimiterHint : 1
; COMPUTE_PGM_RSRC2:SCRATCH_EN: 0
; COMPUTE_PGM_RSRC2:USER_SGPR: 2
; COMPUTE_PGM_RSRC2:TRAP_HANDLER: 0
; COMPUTE_PGM_RSRC2:TGID_X_EN: 1
; COMPUTE_PGM_RSRC2:TGID_Y_EN: 0
; COMPUTE_PGM_RSRC2:TGID_Z_EN: 0
; COMPUTE_PGM_RSRC2:TIDIG_COMP_CNT: 0
	.section	.text._Z6kernelI23blocked_to_warp_stripedN15benchmark_utils11custom_typeIffEELj256ELj4ELj100EEvPKT0_PKjPS4_,"axG",@progbits,_Z6kernelI23blocked_to_warp_stripedN15benchmark_utils11custom_typeIffEELj256ELj4ELj100EEvPKT0_PKjPS4_,comdat
	.protected	_Z6kernelI23blocked_to_warp_stripedN15benchmark_utils11custom_typeIffEELj256ELj4ELj100EEvPKT0_PKjPS4_ ; -- Begin function _Z6kernelI23blocked_to_warp_stripedN15benchmark_utils11custom_typeIffEELj256ELj4ELj100EEvPKT0_PKjPS4_
	.globl	_Z6kernelI23blocked_to_warp_stripedN15benchmark_utils11custom_typeIffEELj256ELj4ELj100EEvPKT0_PKjPS4_
	.p2align	8
	.type	_Z6kernelI23blocked_to_warp_stripedN15benchmark_utils11custom_typeIffEELj256ELj4ELj100EEvPKT0_PKjPS4_,@function
_Z6kernelI23blocked_to_warp_stripedN15benchmark_utils11custom_typeIffEELj256ELj4ELj100EEvPKT0_PKjPS4_: ; @_Z6kernelI23blocked_to_warp_stripedN15benchmark_utils11custom_typeIffEELj256ELj4ELj100EEvPKT0_PKjPS4_
; %bb.0:
	s_load_b64 s[4:5], s[0:1], 0x0
	s_bfe_u32 s2, ttmp6, 0x4000c
	s_and_b32 s3, ttmp6, 15
	s_add_co_i32 s2, s2, 1
	s_getreg_b32 s6, hwreg(HW_REG_IB_STS2, 6, 4)
	s_mul_i32 s2, ttmp9, s2
	v_dual_lshlrev_b32 v1, 5, v0 :: v_dual_lshlrev_b32 v10, 2, v0
	s_add_co_i32 s3, s3, s2
	s_cmp_eq_u32 s6, 0
	v_and_b32_e32 v11, 0xc0, v0
	s_cselect_b32 s2, ttmp9, s3
	s_mov_b32 s3, 0
	s_lshl_b32 s2, s2, 10
	v_and_b32_e32 v0, 0x300, v10
	s_lshl_b64 s[2:3], s[2:3], 3
	s_delay_alu instid0(VALU_DEP_1)
	v_or_b32_e32 v14, 0x80, v0
	s_wait_kmcnt 0x0
	s_add_nc_u64 s[4:5], s[4:5], s[2:3]
	v_or_b32_e32 v15, 0xc0, v0
	s_clause 0x1
	global_load_b128 v[2:5], v1, s[4:5] offset:16
	global_load_b128 v[6:9], v1, s[4:5]
	s_wait_xcnt 0x0
	v_mbcnt_lo_u32_b32 v1, -1, 0
	v_or_b32_e32 v13, 64, v0
	s_movk_i32 s4, 0x64
	s_delay_alu instid0(VALU_DEP_2) | instskip(SKIP_2) | instid1(VALU_DEP_2)
	v_dual_lshrrev_b32 v16, 2, v0 :: v_dual_bitop2_b32 v10, v1, v11 bitop3:0x54
	v_or_b32_e32 v12, v1, v0
	v_bitop3_b32 v11, v1, 0xd8, v11 bitop3:0xc8
	v_dual_lshlrev_b32 v17, 3, v12 :: v_dual_lshrrev_b32 v12, 2, v13
	v_dual_lshrrev_b32 v13, 2, v14 :: v_dual_lshrrev_b32 v14, 2, v15
	s_delay_alu instid0(VALU_DEP_3) | instskip(NEXT) | instid1(VALU_DEP_3)
	v_lshl_add_u32 v10, v10, 5, v11
	v_add_nc_u32_e32 v11, v16, v17
	s_delay_alu instid0(VALU_DEP_3) | instskip(NEXT) | instid1(VALU_DEP_4)
	v_dual_add_nc_u32 v12, v12, v17 :: v_dual_add_nc_u32 v13, v13, v17
	v_add_nc_u32_e32 v14, v14, v17
.LBB81_1:                               ; =>This Inner Loop Header: Depth=1
	s_wait_loadcnt 0x0
	ds_store_2addr_b64 v10, v[6:7], v[8:9] offset1:1
	ds_store_2addr_b64 v10, v[2:3], v[4:5] offset0:2 offset1:3
	; wave barrier
	ds_load_b64 v[6:7], v11
	ds_load_b64 v[8:9], v12 offset:512
	ds_load_b64 v[2:3], v13 offset:1024
	;; [unrolled: 1-line block ×3, first 2 shown]
	s_add_co_i32 s4, s4, -1
	s_wait_dscnt 0x0
	s_cmp_lg_u32 s4, 0
	s_barrier_signal -1
	s_barrier_wait -1
	s_cbranch_scc1 .LBB81_1
; %bb.2:
	s_load_b64 s[0:1], s[0:1], 0x10
	v_dual_mov_b32 v11, 0 :: v_dual_lshlrev_b32 v10, 3, v1
	s_wait_kmcnt 0x0
	s_add_nc_u64 s[0:1], s[0:1], s[2:3]
	s_delay_alu instid0(VALU_DEP_1) | instid1(SALU_CYCLE_1)
	v_add_nc_u64_e32 v[12:13], s[0:1], v[10:11]
	v_lshlrev_b32_e32 v10, 3, v0
	s_delay_alu instid0(VALU_DEP_1)
	v_add_nc_u64_e32 v[0:1], v[12:13], v[10:11]
	s_clause 0x3
	global_store_b64 v[0:1], v[6:7], off
	global_store_b64 v[0:1], v[8:9], off offset:512
	global_store_b64 v[0:1], v[2:3], off offset:1024
	;; [unrolled: 1-line block ×3, first 2 shown]
	s_endpgm
	.section	.rodata,"a",@progbits
	.p2align	6, 0x0
	.amdhsa_kernel _Z6kernelI23blocked_to_warp_stripedN15benchmark_utils11custom_typeIffEELj256ELj4ELj100EEvPKT0_PKjPS4_
		.amdhsa_group_segment_fixed_size 8448
		.amdhsa_private_segment_fixed_size 0
		.amdhsa_kernarg_size 24
		.amdhsa_user_sgpr_count 2
		.amdhsa_user_sgpr_dispatch_ptr 0
		.amdhsa_user_sgpr_queue_ptr 0
		.amdhsa_user_sgpr_kernarg_segment_ptr 1
		.amdhsa_user_sgpr_dispatch_id 0
		.amdhsa_user_sgpr_kernarg_preload_length 0
		.amdhsa_user_sgpr_kernarg_preload_offset 0
		.amdhsa_user_sgpr_private_segment_size 0
		.amdhsa_wavefront_size32 1
		.amdhsa_uses_dynamic_stack 0
		.amdhsa_enable_private_segment 0
		.amdhsa_system_sgpr_workgroup_id_x 1
		.amdhsa_system_sgpr_workgroup_id_y 0
		.amdhsa_system_sgpr_workgroup_id_z 0
		.amdhsa_system_sgpr_workgroup_info 0
		.amdhsa_system_vgpr_workitem_id 0
		.amdhsa_next_free_vgpr 18
		.amdhsa_next_free_sgpr 7
		.amdhsa_named_barrier_count 0
		.amdhsa_reserve_vcc 0
		.amdhsa_float_round_mode_32 0
		.amdhsa_float_round_mode_16_64 0
		.amdhsa_float_denorm_mode_32 3
		.amdhsa_float_denorm_mode_16_64 3
		.amdhsa_fp16_overflow 0
		.amdhsa_memory_ordered 1
		.amdhsa_forward_progress 1
		.amdhsa_inst_pref_size 4
		.amdhsa_round_robin_scheduling 0
		.amdhsa_exception_fp_ieee_invalid_op 0
		.amdhsa_exception_fp_denorm_src 0
		.amdhsa_exception_fp_ieee_div_zero 0
		.amdhsa_exception_fp_ieee_overflow 0
		.amdhsa_exception_fp_ieee_underflow 0
		.amdhsa_exception_fp_ieee_inexact 0
		.amdhsa_exception_int_div_zero 0
	.end_amdhsa_kernel
	.section	.text._Z6kernelI23blocked_to_warp_stripedN15benchmark_utils11custom_typeIffEELj256ELj4ELj100EEvPKT0_PKjPS4_,"axG",@progbits,_Z6kernelI23blocked_to_warp_stripedN15benchmark_utils11custom_typeIffEELj256ELj4ELj100EEvPKT0_PKjPS4_,comdat
.Lfunc_end81:
	.size	_Z6kernelI23blocked_to_warp_stripedN15benchmark_utils11custom_typeIffEELj256ELj4ELj100EEvPKT0_PKjPS4_, .Lfunc_end81-_Z6kernelI23blocked_to_warp_stripedN15benchmark_utils11custom_typeIffEELj256ELj4ELj100EEvPKT0_PKjPS4_
                                        ; -- End function
	.set _Z6kernelI23blocked_to_warp_stripedN15benchmark_utils11custom_typeIffEELj256ELj4ELj100EEvPKT0_PKjPS4_.num_vgpr, 18
	.set _Z6kernelI23blocked_to_warp_stripedN15benchmark_utils11custom_typeIffEELj256ELj4ELj100EEvPKT0_PKjPS4_.num_agpr, 0
	.set _Z6kernelI23blocked_to_warp_stripedN15benchmark_utils11custom_typeIffEELj256ELj4ELj100EEvPKT0_PKjPS4_.numbered_sgpr, 7
	.set _Z6kernelI23blocked_to_warp_stripedN15benchmark_utils11custom_typeIffEELj256ELj4ELj100EEvPKT0_PKjPS4_.num_named_barrier, 0
	.set _Z6kernelI23blocked_to_warp_stripedN15benchmark_utils11custom_typeIffEELj256ELj4ELj100EEvPKT0_PKjPS4_.private_seg_size, 0
	.set _Z6kernelI23blocked_to_warp_stripedN15benchmark_utils11custom_typeIffEELj256ELj4ELj100EEvPKT0_PKjPS4_.uses_vcc, 0
	.set _Z6kernelI23blocked_to_warp_stripedN15benchmark_utils11custom_typeIffEELj256ELj4ELj100EEvPKT0_PKjPS4_.uses_flat_scratch, 0
	.set _Z6kernelI23blocked_to_warp_stripedN15benchmark_utils11custom_typeIffEELj256ELj4ELj100EEvPKT0_PKjPS4_.has_dyn_sized_stack, 0
	.set _Z6kernelI23blocked_to_warp_stripedN15benchmark_utils11custom_typeIffEELj256ELj4ELj100EEvPKT0_PKjPS4_.has_recursion, 0
	.set _Z6kernelI23blocked_to_warp_stripedN15benchmark_utils11custom_typeIffEELj256ELj4ELj100EEvPKT0_PKjPS4_.has_indirect_call, 0
	.section	.AMDGPU.csdata,"",@progbits
; Kernel info:
; codeLenInByte = 428
; TotalNumSgprs: 7
; NumVgprs: 18
; ScratchSize: 0
; MemoryBound: 0
; FloatMode: 240
; IeeeMode: 1
; LDSByteSize: 8448 bytes/workgroup (compile time only)
; SGPRBlocks: 0
; VGPRBlocks: 1
; NumSGPRsForWavesPerEU: 7
; NumVGPRsForWavesPerEU: 18
; NamedBarCnt: 0
; Occupancy: 16
; WaveLimiterHint : 1
; COMPUTE_PGM_RSRC2:SCRATCH_EN: 0
; COMPUTE_PGM_RSRC2:USER_SGPR: 2
; COMPUTE_PGM_RSRC2:TRAP_HANDLER: 0
; COMPUTE_PGM_RSRC2:TGID_X_EN: 1
; COMPUTE_PGM_RSRC2:TGID_Y_EN: 0
; COMPUTE_PGM_RSRC2:TGID_Z_EN: 0
; COMPUTE_PGM_RSRC2:TIDIG_COMP_CNT: 0
	.section	.text._Z6kernelI23blocked_to_warp_stripedN15benchmark_utils11custom_typeIffEELj256ELj7ELj100EEvPKT0_PKjPS4_,"axG",@progbits,_Z6kernelI23blocked_to_warp_stripedN15benchmark_utils11custom_typeIffEELj256ELj7ELj100EEvPKT0_PKjPS4_,comdat
	.protected	_Z6kernelI23blocked_to_warp_stripedN15benchmark_utils11custom_typeIffEELj256ELj7ELj100EEvPKT0_PKjPS4_ ; -- Begin function _Z6kernelI23blocked_to_warp_stripedN15benchmark_utils11custom_typeIffEELj256ELj7ELj100EEvPKT0_PKjPS4_
	.globl	_Z6kernelI23blocked_to_warp_stripedN15benchmark_utils11custom_typeIffEELj256ELj7ELj100EEvPKT0_PKjPS4_
	.p2align	8
	.type	_Z6kernelI23blocked_to_warp_stripedN15benchmark_utils11custom_typeIffEELj256ELj7ELj100EEvPKT0_PKjPS4_,@function
_Z6kernelI23blocked_to_warp_stripedN15benchmark_utils11custom_typeIffEELj256ELj7ELj100EEvPKT0_PKjPS4_: ; @_Z6kernelI23blocked_to_warp_stripedN15benchmark_utils11custom_typeIffEELj256ELj7ELj100EEvPKT0_PKjPS4_
; %bb.0:
	s_load_b64 s[4:5], s[0:1], 0x0
	s_bfe_u32 s2, ttmp6, 0x4000c
	s_and_b32 s3, ttmp6, 15
	s_add_co_i32 s2, s2, 1
	s_getreg_b32 s6, hwreg(HW_REG_IB_STS2, 6, 4)
	s_mul_i32 s2, ttmp9, s2
	v_mul_u32_u24_e32 v1, 7, v0
	s_add_co_i32 s3, s3, s2
	s_cmp_eq_u32 s6, 0
	s_cselect_b32 s2, ttmp9, s3
	s_mov_b32 s3, 0
	s_mulk_i32 s2, 0x700
	v_lshlrev_b32_e32 v16, 3, v1
	s_lshl_b64 s[2:3], s[2:3], 3
	s_wait_kmcnt 0x0
	s_add_nc_u64 s[4:5], s[4:5], s[2:3]
	s_clause 0x3
	global_load_b128 v[2:5], v16, s[4:5] offset:32
	global_load_b128 v[6:9], v16, s[4:5] offset:16
	global_load_b64 v[14:15], v1, s[4:5] offset:48 scale_offset
	global_load_b128 v[10:13], v16, s[4:5]
	s_wait_xcnt 0x1
	v_lshrrev_b32_e32 v1, 6, v0
	s_wait_xcnt 0x0
	s_movk_i32 s4, 0x64
	s_delay_alu instid0(VALU_DEP_1) | instskip(SKIP_1) | instid1(VALU_DEP_2)
	v_mul_u32_u24_e32 v16, 0x1c0, v1
	v_mbcnt_lo_u32_b32 v1, -1, 0
	v_lshlrev_b32_e32 v17, 3, v16
	s_delay_alu instid0(VALU_DEP_1)
	v_mad_u32_u24 v16, v1, 56, v17
	v_lshl_or_b32 v17, v1, 3, v17
.LBB82_1:                               ; =>This Inner Loop Header: Depth=1
	s_wait_loadcnt 0x0
	ds_store_2addr_b64 v16, v[10:11], v[12:13] offset1:1
	ds_store_2addr_b64 v16, v[6:7], v[8:9] offset0:2 offset1:3
	ds_store_2addr_b64 v16, v[2:3], v[4:5] offset0:4 offset1:5
	ds_store_b64 v16, v[14:15] offset:48
	; wave barrier
	ds_load_2addr_stride64_b64 v[10:13], v17 offset1:1
	ds_load_2addr_stride64_b64 v[6:9], v17 offset0:2 offset1:3
	ds_load_2addr_stride64_b64 v[2:5], v17 offset0:4 offset1:5
	ds_load_b64 v[14:15], v17 offset:3072
	s_add_co_i32 s4, s4, -1
	s_wait_dscnt 0x0
	s_cmp_lg_u32 s4, 0
	s_barrier_signal -1
	s_barrier_wait -1
	s_cbranch_scc1 .LBB82_1
; %bb.2:
	s_load_b64 s[0:1], s[0:1], 0x10
	v_and_b32_e32 v16, 0xc0, v0
	v_dual_mov_b32 v1, 0 :: v_dual_lshlrev_b32 v0, 3, v1
	s_delay_alu instid0(VALU_DEP_2)
	v_mul_u32_u24_e32 v18, 7, v16
	s_wait_kmcnt 0x0
	s_add_nc_u64 s[0:1], s[0:1], s[2:3]
	s_delay_alu instid0(VALU_DEP_2) | instid1(SALU_CYCLE_1)
	v_add_nc_u64_e32 v[16:17], s[0:1], v[0:1]
	s_delay_alu instid0(VALU_DEP_2) | instskip(NEXT) | instid1(VALU_DEP_1)
	v_lshlrev_b32_e32 v0, 3, v18
	v_add_nc_u64_e32 v[0:1], v[16:17], v[0:1]
	s_clause 0x6
	global_store_b64 v[0:1], v[10:11], off
	global_store_b64 v[0:1], v[12:13], off offset:512
	global_store_b64 v[0:1], v[6:7], off offset:1024
	;; [unrolled: 1-line block ×6, first 2 shown]
	s_endpgm
	.section	.rodata,"a",@progbits
	.p2align	6, 0x0
	.amdhsa_kernel _Z6kernelI23blocked_to_warp_stripedN15benchmark_utils11custom_typeIffEELj256ELj7ELj100EEvPKT0_PKjPS4_
		.amdhsa_group_segment_fixed_size 14336
		.amdhsa_private_segment_fixed_size 0
		.amdhsa_kernarg_size 24
		.amdhsa_user_sgpr_count 2
		.amdhsa_user_sgpr_dispatch_ptr 0
		.amdhsa_user_sgpr_queue_ptr 0
		.amdhsa_user_sgpr_kernarg_segment_ptr 1
		.amdhsa_user_sgpr_dispatch_id 0
		.amdhsa_user_sgpr_kernarg_preload_length 0
		.amdhsa_user_sgpr_kernarg_preload_offset 0
		.amdhsa_user_sgpr_private_segment_size 0
		.amdhsa_wavefront_size32 1
		.amdhsa_uses_dynamic_stack 0
		.amdhsa_enable_private_segment 0
		.amdhsa_system_sgpr_workgroup_id_x 1
		.amdhsa_system_sgpr_workgroup_id_y 0
		.amdhsa_system_sgpr_workgroup_id_z 0
		.amdhsa_system_sgpr_workgroup_info 0
		.amdhsa_system_vgpr_workitem_id 0
		.amdhsa_next_free_vgpr 19
		.amdhsa_next_free_sgpr 7
		.amdhsa_named_barrier_count 0
		.amdhsa_reserve_vcc 0
		.amdhsa_float_round_mode_32 0
		.amdhsa_float_round_mode_16_64 0
		.amdhsa_float_denorm_mode_32 3
		.amdhsa_float_denorm_mode_16_64 3
		.amdhsa_fp16_overflow 0
		.amdhsa_memory_ordered 1
		.amdhsa_forward_progress 1
		.amdhsa_inst_pref_size 4
		.amdhsa_round_robin_scheduling 0
		.amdhsa_exception_fp_ieee_invalid_op 0
		.amdhsa_exception_fp_denorm_src 0
		.amdhsa_exception_fp_ieee_div_zero 0
		.amdhsa_exception_fp_ieee_overflow 0
		.amdhsa_exception_fp_ieee_underflow 0
		.amdhsa_exception_fp_ieee_inexact 0
		.amdhsa_exception_int_div_zero 0
	.end_amdhsa_kernel
	.section	.text._Z6kernelI23blocked_to_warp_stripedN15benchmark_utils11custom_typeIffEELj256ELj7ELj100EEvPKT0_PKjPS4_,"axG",@progbits,_Z6kernelI23blocked_to_warp_stripedN15benchmark_utils11custom_typeIffEELj256ELj7ELj100EEvPKT0_PKjPS4_,comdat
.Lfunc_end82:
	.size	_Z6kernelI23blocked_to_warp_stripedN15benchmark_utils11custom_typeIffEELj256ELj7ELj100EEvPKT0_PKjPS4_, .Lfunc_end82-_Z6kernelI23blocked_to_warp_stripedN15benchmark_utils11custom_typeIffEELj256ELj7ELj100EEvPKT0_PKjPS4_
                                        ; -- End function
	.set _Z6kernelI23blocked_to_warp_stripedN15benchmark_utils11custom_typeIffEELj256ELj7ELj100EEvPKT0_PKjPS4_.num_vgpr, 19
	.set _Z6kernelI23blocked_to_warp_stripedN15benchmark_utils11custom_typeIffEELj256ELj7ELj100EEvPKT0_PKjPS4_.num_agpr, 0
	.set _Z6kernelI23blocked_to_warp_stripedN15benchmark_utils11custom_typeIffEELj256ELj7ELj100EEvPKT0_PKjPS4_.numbered_sgpr, 7
	.set _Z6kernelI23blocked_to_warp_stripedN15benchmark_utils11custom_typeIffEELj256ELj7ELj100EEvPKT0_PKjPS4_.num_named_barrier, 0
	.set _Z6kernelI23blocked_to_warp_stripedN15benchmark_utils11custom_typeIffEELj256ELj7ELj100EEvPKT0_PKjPS4_.private_seg_size, 0
	.set _Z6kernelI23blocked_to_warp_stripedN15benchmark_utils11custom_typeIffEELj256ELj7ELj100EEvPKT0_PKjPS4_.uses_vcc, 0
	.set _Z6kernelI23blocked_to_warp_stripedN15benchmark_utils11custom_typeIffEELj256ELj7ELj100EEvPKT0_PKjPS4_.uses_flat_scratch, 0
	.set _Z6kernelI23blocked_to_warp_stripedN15benchmark_utils11custom_typeIffEELj256ELj7ELj100EEvPKT0_PKjPS4_.has_dyn_sized_stack, 0
	.set _Z6kernelI23blocked_to_warp_stripedN15benchmark_utils11custom_typeIffEELj256ELj7ELj100EEvPKT0_PKjPS4_.has_recursion, 0
	.set _Z6kernelI23blocked_to_warp_stripedN15benchmark_utils11custom_typeIffEELj256ELj7ELj100EEvPKT0_PKjPS4_.has_indirect_call, 0
	.section	.AMDGPU.csdata,"",@progbits
; Kernel info:
; codeLenInByte = 428
; TotalNumSgprs: 7
; NumVgprs: 19
; ScratchSize: 0
; MemoryBound: 0
; FloatMode: 240
; IeeeMode: 1
; LDSByteSize: 14336 bytes/workgroup (compile time only)
; SGPRBlocks: 0
; VGPRBlocks: 1
; NumSGPRsForWavesPerEU: 7
; NumVGPRsForWavesPerEU: 19
; NamedBarCnt: 0
; Occupancy: 16
; WaveLimiterHint : 1
; COMPUTE_PGM_RSRC2:SCRATCH_EN: 0
; COMPUTE_PGM_RSRC2:USER_SGPR: 2
; COMPUTE_PGM_RSRC2:TRAP_HANDLER: 0
; COMPUTE_PGM_RSRC2:TGID_X_EN: 1
; COMPUTE_PGM_RSRC2:TGID_Y_EN: 0
; COMPUTE_PGM_RSRC2:TGID_Z_EN: 0
; COMPUTE_PGM_RSRC2:TIDIG_COMP_CNT: 0
	.section	.text._Z6kernelI23blocked_to_warp_stripedN15benchmark_utils11custom_typeIffEELj256ELj8ELj100EEvPKT0_PKjPS4_,"axG",@progbits,_Z6kernelI23blocked_to_warp_stripedN15benchmark_utils11custom_typeIffEELj256ELj8ELj100EEvPKT0_PKjPS4_,comdat
	.protected	_Z6kernelI23blocked_to_warp_stripedN15benchmark_utils11custom_typeIffEELj256ELj8ELj100EEvPKT0_PKjPS4_ ; -- Begin function _Z6kernelI23blocked_to_warp_stripedN15benchmark_utils11custom_typeIffEELj256ELj8ELj100EEvPKT0_PKjPS4_
	.globl	_Z6kernelI23blocked_to_warp_stripedN15benchmark_utils11custom_typeIffEELj256ELj8ELj100EEvPKT0_PKjPS4_
	.p2align	8
	.type	_Z6kernelI23blocked_to_warp_stripedN15benchmark_utils11custom_typeIffEELj256ELj8ELj100EEvPKT0_PKjPS4_,@function
_Z6kernelI23blocked_to_warp_stripedN15benchmark_utils11custom_typeIffEELj256ELj8ELj100EEvPKT0_PKjPS4_: ; @_Z6kernelI23blocked_to_warp_stripedN15benchmark_utils11custom_typeIffEELj256ELj8ELj100EEvPKT0_PKjPS4_
; %bb.0:
	s_load_b64 s[4:5], s[0:1], 0x0
	s_bfe_u32 s2, ttmp6, 0x4000c
	s_and_b32 s3, ttmp6, 15
	s_add_co_i32 s2, s2, 1
	s_getreg_b32 s6, hwreg(HW_REG_IB_STS2, 6, 4)
	s_mul_i32 s2, ttmp9, s2
	v_dual_lshlrev_b32 v1, 6, v0 :: v_dual_lshlrev_b32 v18, 3, v0
	s_add_co_i32 s3, s3, s2
	s_cmp_eq_u32 s6, 0
	s_cselect_b32 s2, ttmp9, s3
	s_mov_b32 s3, 0
	s_lshl_b32 s2, s2, 11
	s_delay_alu instid0(SALU_CYCLE_1)
	s_lshl_b64 s[2:3], s[2:3], 3
	s_wait_kmcnt 0x0
	s_add_nc_u64 s[4:5], s[4:5], s[2:3]
	s_clause 0x3
	global_load_b128 v[2:5], v1, s[4:5] offset:48
	global_load_b128 v[6:9], v1, s[4:5] offset:32
	;; [unrolled: 1-line block ×3, first 2 shown]
	global_load_b128 v[14:17], v1, s[4:5]
	s_wait_xcnt 0x0
	v_mbcnt_lo_u32_b32 v1, -1, 0
	s_movk_i32 s4, 0x64
	s_delay_alu instid0(VALU_DEP_1) | instskip(SKIP_1) | instid1(VALU_DEP_1)
	v_and_or_b32 v19, 0xc0, v0, v1
	v_and_b32_e32 v0, 0x600, v18
	v_dual_lshlrev_b32 v18, 1, v19 :: v_dual_bitop2_b32 v20, v1, v0 bitop3:0x54
	v_dual_lshrrev_b32 v23, 2, v0 :: v_dual_bitop2_b32 v21, 64, v0 bitop3:0x54
	v_or_b32_e32 v22, 0x80, v0
	s_delay_alu instid0(VALU_DEP_3) | instskip(NEXT) | instid1(VALU_DEP_3)
	v_and_b32_e32 v18, 0x1b8, v18
	v_dual_lshlrev_b32 v26, 3, v20 :: v_dual_lshrrev_b32 v20, 2, v21
	v_or_b32_e32 v24, 0x140, v0
	s_delay_alu instid0(VALU_DEP_4) | instskip(NEXT) | instid1(VALU_DEP_4)
	v_lshrrev_b32_e32 v21, 2, v22
	v_lshl_add_u32 v18, v19, 6, v18
	s_delay_alu instid0(VALU_DEP_4) | instskip(SKIP_4) | instid1(VALU_DEP_4)
	v_dual_add_nc_u32 v19, v23, v26 :: v_dual_add_nc_u32 v20, v20, v26
	v_or_b32_e32 v22, 0xc0, v0
	v_or_b32_e32 v23, 0x100, v0
	;; [unrolled: 1-line block ×4, first 2 shown]
	v_dual_lshrrev_b32 v24, 2, v24 :: v_dual_lshrrev_b32 v22, 2, v22
	s_delay_alu instid0(VALU_DEP_4) | instskip(NEXT) | instid1(VALU_DEP_3)
	v_dual_add_nc_u32 v21, v21, v26 :: v_dual_lshrrev_b32 v23, 2, v23
	v_dual_lshrrev_b32 v25, 2, v25 :: v_dual_lshrrev_b32 v27, 2, v27
	s_delay_alu instid0(VALU_DEP_3) | instskip(NEXT) | instid1(VALU_DEP_2)
	v_dual_add_nc_u32 v22, v22, v26 :: v_dual_add_nc_u32 v24, v24, v26
	v_dual_add_nc_u32 v23, v23, v26 :: v_dual_add_nc_u32 v25, v25, v26
	s_delay_alu instid0(VALU_DEP_3)
	v_add_nc_u32_e32 v26, v27, v26
.LBB83_1:                               ; =>This Inner Loop Header: Depth=1
	s_wait_loadcnt 0x0
	ds_store_2addr_b64 v18, v[14:15], v[16:17] offset1:1
	ds_store_2addr_b64 v18, v[10:11], v[12:13] offset0:2 offset1:3
	ds_store_2addr_b64 v18, v[6:7], v[8:9] offset0:4 offset1:5
	;; [unrolled: 1-line block ×3, first 2 shown]
	; wave barrier
	ds_load_b64 v[14:15], v19
	ds_load_b64 v[16:17], v20 offset:512
	ds_load_b64 v[10:11], v21 offset:1024
	;; [unrolled: 1-line block ×7, first 2 shown]
	s_add_co_i32 s4, s4, -1
	s_wait_dscnt 0x0
	s_cmp_lg_u32 s4, 0
	s_barrier_signal -1
	s_barrier_wait -1
	s_cbranch_scc1 .LBB83_1
; %bb.2:
	s_load_b64 s[0:1], s[0:1], 0x10
	v_dual_mov_b32 v19, 0 :: v_dual_lshlrev_b32 v18, 3, v1
	s_wait_kmcnt 0x0
	s_add_nc_u64 s[0:1], s[0:1], s[2:3]
	s_delay_alu instid0(VALU_DEP_1) | instid1(SALU_CYCLE_1)
	v_add_nc_u64_e32 v[20:21], s[0:1], v[18:19]
	v_lshlrev_b32_e32 v18, 3, v0
	s_delay_alu instid0(VALU_DEP_1)
	v_add_nc_u64_e32 v[0:1], v[20:21], v[18:19]
	s_clause 0x7
	global_store_b64 v[0:1], v[14:15], off
	global_store_b64 v[0:1], v[16:17], off offset:512
	global_store_b64 v[0:1], v[10:11], off offset:1024
	;; [unrolled: 1-line block ×7, first 2 shown]
	s_endpgm
	.section	.rodata,"a",@progbits
	.p2align	6, 0x0
	.amdhsa_kernel _Z6kernelI23blocked_to_warp_stripedN15benchmark_utils11custom_typeIffEELj256ELj8ELj100EEvPKT0_PKjPS4_
		.amdhsa_group_segment_fixed_size 16896
		.amdhsa_private_segment_fixed_size 0
		.amdhsa_kernarg_size 24
		.amdhsa_user_sgpr_count 2
		.amdhsa_user_sgpr_dispatch_ptr 0
		.amdhsa_user_sgpr_queue_ptr 0
		.amdhsa_user_sgpr_kernarg_segment_ptr 1
		.amdhsa_user_sgpr_dispatch_id 0
		.amdhsa_user_sgpr_kernarg_preload_length 0
		.amdhsa_user_sgpr_kernarg_preload_offset 0
		.amdhsa_user_sgpr_private_segment_size 0
		.amdhsa_wavefront_size32 1
		.amdhsa_uses_dynamic_stack 0
		.amdhsa_enable_private_segment 0
		.amdhsa_system_sgpr_workgroup_id_x 1
		.amdhsa_system_sgpr_workgroup_id_y 0
		.amdhsa_system_sgpr_workgroup_id_z 0
		.amdhsa_system_sgpr_workgroup_info 0
		.amdhsa_system_vgpr_workitem_id 0
		.amdhsa_next_free_vgpr 28
		.amdhsa_next_free_sgpr 7
		.amdhsa_named_barrier_count 0
		.amdhsa_reserve_vcc 0
		.amdhsa_float_round_mode_32 0
		.amdhsa_float_round_mode_16_64 0
		.amdhsa_float_denorm_mode_32 3
		.amdhsa_float_denorm_mode_16_64 3
		.amdhsa_fp16_overflow 0
		.amdhsa_memory_ordered 1
		.amdhsa_forward_progress 1
		.amdhsa_inst_pref_size 6
		.amdhsa_round_robin_scheduling 0
		.amdhsa_exception_fp_ieee_invalid_op 0
		.amdhsa_exception_fp_denorm_src 0
		.amdhsa_exception_fp_ieee_div_zero 0
		.amdhsa_exception_fp_ieee_overflow 0
		.amdhsa_exception_fp_ieee_underflow 0
		.amdhsa_exception_fp_ieee_inexact 0
		.amdhsa_exception_int_div_zero 0
	.end_amdhsa_kernel
	.section	.text._Z6kernelI23blocked_to_warp_stripedN15benchmark_utils11custom_typeIffEELj256ELj8ELj100EEvPKT0_PKjPS4_,"axG",@progbits,_Z6kernelI23blocked_to_warp_stripedN15benchmark_utils11custom_typeIffEELj256ELj8ELj100EEvPKT0_PKjPS4_,comdat
.Lfunc_end83:
	.size	_Z6kernelI23blocked_to_warp_stripedN15benchmark_utils11custom_typeIffEELj256ELj8ELj100EEvPKT0_PKjPS4_, .Lfunc_end83-_Z6kernelI23blocked_to_warp_stripedN15benchmark_utils11custom_typeIffEELj256ELj8ELj100EEvPKT0_PKjPS4_
                                        ; -- End function
	.set _Z6kernelI23blocked_to_warp_stripedN15benchmark_utils11custom_typeIffEELj256ELj8ELj100EEvPKT0_PKjPS4_.num_vgpr, 28
	.set _Z6kernelI23blocked_to_warp_stripedN15benchmark_utils11custom_typeIffEELj256ELj8ELj100EEvPKT0_PKjPS4_.num_agpr, 0
	.set _Z6kernelI23blocked_to_warp_stripedN15benchmark_utils11custom_typeIffEELj256ELj8ELj100EEvPKT0_PKjPS4_.numbered_sgpr, 7
	.set _Z6kernelI23blocked_to_warp_stripedN15benchmark_utils11custom_typeIffEELj256ELj8ELj100EEvPKT0_PKjPS4_.num_named_barrier, 0
	.set _Z6kernelI23blocked_to_warp_stripedN15benchmark_utils11custom_typeIffEELj256ELj8ELj100EEvPKT0_PKjPS4_.private_seg_size, 0
	.set _Z6kernelI23blocked_to_warp_stripedN15benchmark_utils11custom_typeIffEELj256ELj8ELj100EEvPKT0_PKjPS4_.uses_vcc, 0
	.set _Z6kernelI23blocked_to_warp_stripedN15benchmark_utils11custom_typeIffEELj256ELj8ELj100EEvPKT0_PKjPS4_.uses_flat_scratch, 0
	.set _Z6kernelI23blocked_to_warp_stripedN15benchmark_utils11custom_typeIffEELj256ELj8ELj100EEvPKT0_PKjPS4_.has_dyn_sized_stack, 0
	.set _Z6kernelI23blocked_to_warp_stripedN15benchmark_utils11custom_typeIffEELj256ELj8ELj100EEvPKT0_PKjPS4_.has_recursion, 0
	.set _Z6kernelI23blocked_to_warp_stripedN15benchmark_utils11custom_typeIffEELj256ELj8ELj100EEvPKT0_PKjPS4_.has_indirect_call, 0
	.section	.AMDGPU.csdata,"",@progbits
; Kernel info:
; codeLenInByte = 648
; TotalNumSgprs: 7
; NumVgprs: 28
; ScratchSize: 0
; MemoryBound: 0
; FloatMode: 240
; IeeeMode: 1
; LDSByteSize: 16896 bytes/workgroup (compile time only)
; SGPRBlocks: 0
; VGPRBlocks: 1
; NumSGPRsForWavesPerEU: 7
; NumVGPRsForWavesPerEU: 28
; NamedBarCnt: 0
; Occupancy: 16
; WaveLimiterHint : 1
; COMPUTE_PGM_RSRC2:SCRATCH_EN: 0
; COMPUTE_PGM_RSRC2:USER_SGPR: 2
; COMPUTE_PGM_RSRC2:TRAP_HANDLER: 0
; COMPUTE_PGM_RSRC2:TGID_X_EN: 1
; COMPUTE_PGM_RSRC2:TGID_Y_EN: 0
; COMPUTE_PGM_RSRC2:TGID_Z_EN: 0
; COMPUTE_PGM_RSRC2:TIDIG_COMP_CNT: 0
	.section	.text._Z6kernelI23blocked_to_warp_stripedN15benchmark_utils11custom_typeIddEELj256ELj1ELj100EEvPKT0_PKjPS4_,"axG",@progbits,_Z6kernelI23blocked_to_warp_stripedN15benchmark_utils11custom_typeIddEELj256ELj1ELj100EEvPKT0_PKjPS4_,comdat
	.protected	_Z6kernelI23blocked_to_warp_stripedN15benchmark_utils11custom_typeIddEELj256ELj1ELj100EEvPKT0_PKjPS4_ ; -- Begin function _Z6kernelI23blocked_to_warp_stripedN15benchmark_utils11custom_typeIddEELj256ELj1ELj100EEvPKT0_PKjPS4_
	.globl	_Z6kernelI23blocked_to_warp_stripedN15benchmark_utils11custom_typeIddEELj256ELj1ELj100EEvPKT0_PKjPS4_
	.p2align	8
	.type	_Z6kernelI23blocked_to_warp_stripedN15benchmark_utils11custom_typeIddEELj256ELj1ELj100EEvPKT0_PKjPS4_,@function
_Z6kernelI23blocked_to_warp_stripedN15benchmark_utils11custom_typeIddEELj256ELj1ELj100EEvPKT0_PKjPS4_: ; @_Z6kernelI23blocked_to_warp_stripedN15benchmark_utils11custom_typeIddEELj256ELj1ELj100EEvPKT0_PKjPS4_
; %bb.0:
	s_load_b64 s[4:5], s[0:1], 0x0
	s_bfe_u32 s2, ttmp6, 0x4000c
	s_and_b32 s3, ttmp6, 15
	s_add_co_i32 s2, s2, 1
	s_getreg_b32 s6, hwreg(HW_REG_IB_STS2, 6, 4)
	s_mul_i32 s2, ttmp9, s2
	v_mbcnt_lo_u32_b32 v1, -1, 0
	s_add_co_i32 s3, s3, s2
	s_cmp_eq_u32 s6, 0
	s_cselect_b32 s2, ttmp9, s3
	s_mov_b32 s3, 0
	s_lshl_b32 s2, s2, 8
	s_delay_alu instid0(SALU_CYCLE_1)
	s_lshl_b64 s[2:3], s[2:3], 4
	s_wait_kmcnt 0x0
	s_add_nc_u64 s[4:5], s[4:5], s[2:3]
	global_load_b128 v[2:5], v0, s[4:5] scale_offset
	s_wait_xcnt 0x0
	v_and_b32_e32 v0, 0xc0, v0
	s_movk_i32 s4, 0x64
	s_delay_alu instid0(VALU_DEP_1) | instskip(NEXT) | instid1(VALU_DEP_1)
	v_or_b32_e32 v6, v1, v0
	v_lshlrev_b32_e32 v6, 4, v6
.LBB84_1:                               ; =>This Inner Loop Header: Depth=1
	s_wait_loadcnt 0x0
	ds_store_b128 v6, v[2:5]
	; wave barrier
	ds_load_b128 v[2:5], v6
	s_add_co_i32 s4, s4, -1
	s_wait_dscnt 0x0
	s_cmp_lg_u32 s4, 0
	s_barrier_signal -1
	s_barrier_wait -1
	s_cbranch_scc1 .LBB84_1
; %bb.2:
	s_load_b64 s[0:1], s[0:1], 0x10
	v_dual_mov_b32 v7, 0 :: v_dual_lshlrev_b32 v6, 4, v1
	s_wait_kmcnt 0x0
	s_add_nc_u64 s[0:1], s[0:1], s[2:3]
	s_delay_alu instid0(VALU_DEP_1) | instid1(SALU_CYCLE_1)
	v_add_nc_u64_e32 v[8:9], s[0:1], v[6:7]
	v_lshlrev_b32_e32 v6, 4, v0
	s_delay_alu instid0(VALU_DEP_1)
	v_add_nc_u64_e32 v[0:1], v[8:9], v[6:7]
	global_store_b128 v[0:1], v[2:5], off
	s_endpgm
	.section	.rodata,"a",@progbits
	.p2align	6, 0x0
	.amdhsa_kernel _Z6kernelI23blocked_to_warp_stripedN15benchmark_utils11custom_typeIddEELj256ELj1ELj100EEvPKT0_PKjPS4_
		.amdhsa_group_segment_fixed_size 4096
		.amdhsa_private_segment_fixed_size 0
		.amdhsa_kernarg_size 24
		.amdhsa_user_sgpr_count 2
		.amdhsa_user_sgpr_dispatch_ptr 0
		.amdhsa_user_sgpr_queue_ptr 0
		.amdhsa_user_sgpr_kernarg_segment_ptr 1
		.amdhsa_user_sgpr_dispatch_id 0
		.amdhsa_user_sgpr_kernarg_preload_length 0
		.amdhsa_user_sgpr_kernarg_preload_offset 0
		.amdhsa_user_sgpr_private_segment_size 0
		.amdhsa_wavefront_size32 1
		.amdhsa_uses_dynamic_stack 0
		.amdhsa_enable_private_segment 0
		.amdhsa_system_sgpr_workgroup_id_x 1
		.amdhsa_system_sgpr_workgroup_id_y 0
		.amdhsa_system_sgpr_workgroup_id_z 0
		.amdhsa_system_sgpr_workgroup_info 0
		.amdhsa_system_vgpr_workitem_id 0
		.amdhsa_next_free_vgpr 10
		.amdhsa_next_free_sgpr 7
		.amdhsa_named_barrier_count 0
		.amdhsa_reserve_vcc 0
		.amdhsa_float_round_mode_32 0
		.amdhsa_float_round_mode_16_64 0
		.amdhsa_float_denorm_mode_32 3
		.amdhsa_float_denorm_mode_16_64 3
		.amdhsa_fp16_overflow 0
		.amdhsa_memory_ordered 1
		.amdhsa_forward_progress 1
		.amdhsa_inst_pref_size 2
		.amdhsa_round_robin_scheduling 0
		.amdhsa_exception_fp_ieee_invalid_op 0
		.amdhsa_exception_fp_denorm_src 0
		.amdhsa_exception_fp_ieee_div_zero 0
		.amdhsa_exception_fp_ieee_overflow 0
		.amdhsa_exception_fp_ieee_underflow 0
		.amdhsa_exception_fp_ieee_inexact 0
		.amdhsa_exception_int_div_zero 0
	.end_amdhsa_kernel
	.section	.text._Z6kernelI23blocked_to_warp_stripedN15benchmark_utils11custom_typeIddEELj256ELj1ELj100EEvPKT0_PKjPS4_,"axG",@progbits,_Z6kernelI23blocked_to_warp_stripedN15benchmark_utils11custom_typeIddEELj256ELj1ELj100EEvPKT0_PKjPS4_,comdat
.Lfunc_end84:
	.size	_Z6kernelI23blocked_to_warp_stripedN15benchmark_utils11custom_typeIddEELj256ELj1ELj100EEvPKT0_PKjPS4_, .Lfunc_end84-_Z6kernelI23blocked_to_warp_stripedN15benchmark_utils11custom_typeIddEELj256ELj1ELj100EEvPKT0_PKjPS4_
                                        ; -- End function
	.set _Z6kernelI23blocked_to_warp_stripedN15benchmark_utils11custom_typeIddEELj256ELj1ELj100EEvPKT0_PKjPS4_.num_vgpr, 10
	.set _Z6kernelI23blocked_to_warp_stripedN15benchmark_utils11custom_typeIddEELj256ELj1ELj100EEvPKT0_PKjPS4_.num_agpr, 0
	.set _Z6kernelI23blocked_to_warp_stripedN15benchmark_utils11custom_typeIddEELj256ELj1ELj100EEvPKT0_PKjPS4_.numbered_sgpr, 7
	.set _Z6kernelI23blocked_to_warp_stripedN15benchmark_utils11custom_typeIddEELj256ELj1ELj100EEvPKT0_PKjPS4_.num_named_barrier, 0
	.set _Z6kernelI23blocked_to_warp_stripedN15benchmark_utils11custom_typeIddEELj256ELj1ELj100EEvPKT0_PKjPS4_.private_seg_size, 0
	.set _Z6kernelI23blocked_to_warp_stripedN15benchmark_utils11custom_typeIddEELj256ELj1ELj100EEvPKT0_PKjPS4_.uses_vcc, 0
	.set _Z6kernelI23blocked_to_warp_stripedN15benchmark_utils11custom_typeIddEELj256ELj1ELj100EEvPKT0_PKjPS4_.uses_flat_scratch, 0
	.set _Z6kernelI23blocked_to_warp_stripedN15benchmark_utils11custom_typeIddEELj256ELj1ELj100EEvPKT0_PKjPS4_.has_dyn_sized_stack, 0
	.set _Z6kernelI23blocked_to_warp_stripedN15benchmark_utils11custom_typeIddEELj256ELj1ELj100EEvPKT0_PKjPS4_.has_recursion, 0
	.set _Z6kernelI23blocked_to_warp_stripedN15benchmark_utils11custom_typeIddEELj256ELj1ELj100EEvPKT0_PKjPS4_.has_indirect_call, 0
	.section	.AMDGPU.csdata,"",@progbits
; Kernel info:
; codeLenInByte = 220
; TotalNumSgprs: 7
; NumVgprs: 10
; ScratchSize: 0
; MemoryBound: 0
; FloatMode: 240
; IeeeMode: 1
; LDSByteSize: 4096 bytes/workgroup (compile time only)
; SGPRBlocks: 0
; VGPRBlocks: 0
; NumSGPRsForWavesPerEU: 7
; NumVGPRsForWavesPerEU: 10
; NamedBarCnt: 0
; Occupancy: 16
; WaveLimiterHint : 0
; COMPUTE_PGM_RSRC2:SCRATCH_EN: 0
; COMPUTE_PGM_RSRC2:USER_SGPR: 2
; COMPUTE_PGM_RSRC2:TRAP_HANDLER: 0
; COMPUTE_PGM_RSRC2:TGID_X_EN: 1
; COMPUTE_PGM_RSRC2:TGID_Y_EN: 0
; COMPUTE_PGM_RSRC2:TGID_Z_EN: 0
; COMPUTE_PGM_RSRC2:TIDIG_COMP_CNT: 0
	.section	.text._Z6kernelI23blocked_to_warp_stripedN15benchmark_utils11custom_typeIddEELj256ELj2ELj100EEvPKT0_PKjPS4_,"axG",@progbits,_Z6kernelI23blocked_to_warp_stripedN15benchmark_utils11custom_typeIddEELj256ELj2ELj100EEvPKT0_PKjPS4_,comdat
	.protected	_Z6kernelI23blocked_to_warp_stripedN15benchmark_utils11custom_typeIddEELj256ELj2ELj100EEvPKT0_PKjPS4_ ; -- Begin function _Z6kernelI23blocked_to_warp_stripedN15benchmark_utils11custom_typeIddEELj256ELj2ELj100EEvPKT0_PKjPS4_
	.globl	_Z6kernelI23blocked_to_warp_stripedN15benchmark_utils11custom_typeIddEELj256ELj2ELj100EEvPKT0_PKjPS4_
	.p2align	8
	.type	_Z6kernelI23blocked_to_warp_stripedN15benchmark_utils11custom_typeIddEELj256ELj2ELj100EEvPKT0_PKjPS4_,@function
_Z6kernelI23blocked_to_warp_stripedN15benchmark_utils11custom_typeIddEELj256ELj2ELj100EEvPKT0_PKjPS4_: ; @_Z6kernelI23blocked_to_warp_stripedN15benchmark_utils11custom_typeIddEELj256ELj2ELj100EEvPKT0_PKjPS4_
; %bb.0:
	s_load_b64 s[4:5], s[0:1], 0x0
	s_bfe_u32 s2, ttmp6, 0x4000c
	s_and_b32 s3, ttmp6, 15
	s_add_co_i32 s2, s2, 1
	s_getreg_b32 s6, hwreg(HW_REG_IB_STS2, 6, 4)
	s_mul_i32 s2, ttmp9, s2
	v_mbcnt_lo_u32_b32 v10, -1, 0
	s_add_co_i32 s3, s3, s2
	s_cmp_eq_u32 s6, 0
	v_lshlrev_b32_e32 v1, 5, v0
	s_cselect_b32 s2, ttmp9, s3
	s_mov_b32 s3, 0
	s_lshl_b32 s2, s2, 9
	s_delay_alu instid0(SALU_CYCLE_1)
	s_lshl_b64 s[2:3], s[2:3], 4
	s_wait_kmcnt 0x0
	s_add_nc_u64 s[4:5], s[4:5], s[2:3]
	s_clause 0x1
	global_load_b128 v[2:5], v1, s[4:5] offset:16
	global_load_b128 v[6:9], v1, s[4:5]
	s_wait_xcnt 0x0
	v_lshlrev_b32_e32 v1, 1, v0
	v_and_b32_e32 v0, 0xc0, v0
	s_movk_i32 s4, 0x64
	s_delay_alu instid0(VALU_DEP_2) | instskip(NEXT) | instid1(VALU_DEP_2)
	v_and_b32_e32 v1, 0x180, v1
	v_or_b32_e32 v14, v10, v0
	v_bitop3_b32 v0, v10, 0xd0, v0 bitop3:0xc8
	s_delay_alu instid0(VALU_DEP_3) | instskip(SKIP_2) | instid1(VALU_DEP_4)
	v_lshrrev_b16 v11, 1, v1
	v_or_b32_e32 v12, v10, v1
	v_or_b32_e32 v13, 64, v1
	v_lshl_add_u32 v0, v14, 5, v0
	s_delay_alu instid0(VALU_DEP_4) | instskip(NEXT) | instid1(VALU_DEP_3)
	v_and_b32_e32 v11, 0xffff, v11
	v_dual_lshlrev_b32 v12, 4, v12 :: v_dual_lshrrev_b32 v13, 1, v13
	s_delay_alu instid0(VALU_DEP_1)
	v_dual_add_nc_u32 v11, v11, v12 :: v_dual_add_nc_u32 v12, v13, v12
.LBB85_1:                               ; =>This Inner Loop Header: Depth=1
	s_wait_loadcnt 0x0
	ds_store_b128 v0, v[6:9]
	ds_store_b128 v0, v[2:5] offset:16
	; wave barrier
	ds_load_b128 v[6:9], v11
	ds_load_b128 v[2:5], v12 offset:1024
	s_add_co_i32 s4, s4, -1
	s_wait_dscnt 0x0
	s_cmp_lg_u32 s4, 0
	s_barrier_signal -1
	s_barrier_wait -1
	s_cbranch_scc1 .LBB85_1
; %bb.2:
	s_load_b64 s[0:1], s[0:1], 0x10
	v_dual_mov_b32 v11, 0 :: v_dual_lshlrev_b32 v10, 4, v10
	s_wait_kmcnt 0x0
	s_add_nc_u64 s[0:1], s[0:1], s[2:3]
	s_delay_alu instid0(VALU_DEP_1) | instid1(SALU_CYCLE_1)
	v_add_nc_u64_e32 v[12:13], s[0:1], v[10:11]
	v_lshlrev_b32_e32 v10, 4, v1
	s_delay_alu instid0(VALU_DEP_1)
	v_add_nc_u64_e32 v[0:1], v[12:13], v[10:11]
	s_clause 0x1
	global_store_b128 v[0:1], v[6:9], off
	global_store_b128 v[0:1], v[2:5], off offset:1024
	s_endpgm
	.section	.rodata,"a",@progbits
	.p2align	6, 0x0
	.amdhsa_kernel _Z6kernelI23blocked_to_warp_stripedN15benchmark_utils11custom_typeIddEELj256ELj2ELj100EEvPKT0_PKjPS4_
		.amdhsa_group_segment_fixed_size 8448
		.amdhsa_private_segment_fixed_size 0
		.amdhsa_kernarg_size 24
		.amdhsa_user_sgpr_count 2
		.amdhsa_user_sgpr_dispatch_ptr 0
		.amdhsa_user_sgpr_queue_ptr 0
		.amdhsa_user_sgpr_kernarg_segment_ptr 1
		.amdhsa_user_sgpr_dispatch_id 0
		.amdhsa_user_sgpr_kernarg_preload_length 0
		.amdhsa_user_sgpr_kernarg_preload_offset 0
		.amdhsa_user_sgpr_private_segment_size 0
		.amdhsa_wavefront_size32 1
		.amdhsa_uses_dynamic_stack 0
		.amdhsa_enable_private_segment 0
		.amdhsa_system_sgpr_workgroup_id_x 1
		.amdhsa_system_sgpr_workgroup_id_y 0
		.amdhsa_system_sgpr_workgroup_id_z 0
		.amdhsa_system_sgpr_workgroup_info 0
		.amdhsa_system_vgpr_workitem_id 0
		.amdhsa_next_free_vgpr 15
		.amdhsa_next_free_sgpr 7
		.amdhsa_named_barrier_count 0
		.amdhsa_reserve_vcc 0
		.amdhsa_float_round_mode_32 0
		.amdhsa_float_round_mode_16_64 0
		.amdhsa_float_denorm_mode_32 3
		.amdhsa_float_denorm_mode_16_64 3
		.amdhsa_fp16_overflow 0
		.amdhsa_memory_ordered 1
		.amdhsa_forward_progress 1
		.amdhsa_inst_pref_size 3
		.amdhsa_round_robin_scheduling 0
		.amdhsa_exception_fp_ieee_invalid_op 0
		.amdhsa_exception_fp_denorm_src 0
		.amdhsa_exception_fp_ieee_div_zero 0
		.amdhsa_exception_fp_ieee_overflow 0
		.amdhsa_exception_fp_ieee_underflow 0
		.amdhsa_exception_fp_ieee_inexact 0
		.amdhsa_exception_int_div_zero 0
	.end_amdhsa_kernel
	.section	.text._Z6kernelI23blocked_to_warp_stripedN15benchmark_utils11custom_typeIddEELj256ELj2ELj100EEvPKT0_PKjPS4_,"axG",@progbits,_Z6kernelI23blocked_to_warp_stripedN15benchmark_utils11custom_typeIddEELj256ELj2ELj100EEvPKT0_PKjPS4_,comdat
.Lfunc_end85:
	.size	_Z6kernelI23blocked_to_warp_stripedN15benchmark_utils11custom_typeIddEELj256ELj2ELj100EEvPKT0_PKjPS4_, .Lfunc_end85-_Z6kernelI23blocked_to_warp_stripedN15benchmark_utils11custom_typeIddEELj256ELj2ELj100EEvPKT0_PKjPS4_
                                        ; -- End function
	.set _Z6kernelI23blocked_to_warp_stripedN15benchmark_utils11custom_typeIddEELj256ELj2ELj100EEvPKT0_PKjPS4_.num_vgpr, 15
	.set _Z6kernelI23blocked_to_warp_stripedN15benchmark_utils11custom_typeIddEELj256ELj2ELj100EEvPKT0_PKjPS4_.num_agpr, 0
	.set _Z6kernelI23blocked_to_warp_stripedN15benchmark_utils11custom_typeIddEELj256ELj2ELj100EEvPKT0_PKjPS4_.numbered_sgpr, 7
	.set _Z6kernelI23blocked_to_warp_stripedN15benchmark_utils11custom_typeIddEELj256ELj2ELj100EEvPKT0_PKjPS4_.num_named_barrier, 0
	.set _Z6kernelI23blocked_to_warp_stripedN15benchmark_utils11custom_typeIddEELj256ELj2ELj100EEvPKT0_PKjPS4_.private_seg_size, 0
	.set _Z6kernelI23blocked_to_warp_stripedN15benchmark_utils11custom_typeIddEELj256ELj2ELj100EEvPKT0_PKjPS4_.uses_vcc, 0
	.set _Z6kernelI23blocked_to_warp_stripedN15benchmark_utils11custom_typeIddEELj256ELj2ELj100EEvPKT0_PKjPS4_.uses_flat_scratch, 0
	.set _Z6kernelI23blocked_to_warp_stripedN15benchmark_utils11custom_typeIddEELj256ELj2ELj100EEvPKT0_PKjPS4_.has_dyn_sized_stack, 0
	.set _Z6kernelI23blocked_to_warp_stripedN15benchmark_utils11custom_typeIddEELj256ELj2ELj100EEvPKT0_PKjPS4_.has_recursion, 0
	.set _Z6kernelI23blocked_to_warp_stripedN15benchmark_utils11custom_typeIddEELj256ELj2ELj100EEvPKT0_PKjPS4_.has_indirect_call, 0
	.section	.AMDGPU.csdata,"",@progbits
; Kernel info:
; codeLenInByte = 360
; TotalNumSgprs: 7
; NumVgprs: 15
; ScratchSize: 0
; MemoryBound: 0
; FloatMode: 240
; IeeeMode: 1
; LDSByteSize: 8448 bytes/workgroup (compile time only)
; SGPRBlocks: 0
; VGPRBlocks: 0
; NumSGPRsForWavesPerEU: 7
; NumVGPRsForWavesPerEU: 15
; NamedBarCnt: 0
; Occupancy: 16
; WaveLimiterHint : 1
; COMPUTE_PGM_RSRC2:SCRATCH_EN: 0
; COMPUTE_PGM_RSRC2:USER_SGPR: 2
; COMPUTE_PGM_RSRC2:TRAP_HANDLER: 0
; COMPUTE_PGM_RSRC2:TGID_X_EN: 1
; COMPUTE_PGM_RSRC2:TGID_Y_EN: 0
; COMPUTE_PGM_RSRC2:TGID_Z_EN: 0
; COMPUTE_PGM_RSRC2:TIDIG_COMP_CNT: 0
	.section	.text._Z6kernelI23blocked_to_warp_stripedN15benchmark_utils11custom_typeIddEELj256ELj3ELj100EEvPKT0_PKjPS4_,"axG",@progbits,_Z6kernelI23blocked_to_warp_stripedN15benchmark_utils11custom_typeIddEELj256ELj3ELj100EEvPKT0_PKjPS4_,comdat
	.protected	_Z6kernelI23blocked_to_warp_stripedN15benchmark_utils11custom_typeIddEELj256ELj3ELj100EEvPKT0_PKjPS4_ ; -- Begin function _Z6kernelI23blocked_to_warp_stripedN15benchmark_utils11custom_typeIddEELj256ELj3ELj100EEvPKT0_PKjPS4_
	.globl	_Z6kernelI23blocked_to_warp_stripedN15benchmark_utils11custom_typeIddEELj256ELj3ELj100EEvPKT0_PKjPS4_
	.p2align	8
	.type	_Z6kernelI23blocked_to_warp_stripedN15benchmark_utils11custom_typeIddEELj256ELj3ELj100EEvPKT0_PKjPS4_,@function
_Z6kernelI23blocked_to_warp_stripedN15benchmark_utils11custom_typeIddEELj256ELj3ELj100EEvPKT0_PKjPS4_: ; @_Z6kernelI23blocked_to_warp_stripedN15benchmark_utils11custom_typeIddEELj256ELj3ELj100EEvPKT0_PKjPS4_
; %bb.0:
	s_load_b64 s[4:5], s[0:1], 0x0
	s_bfe_u32 s2, ttmp6, 0x4000c
	s_and_b32 s3, ttmp6, 15
	s_add_co_i32 s2, s2, 1
	s_getreg_b32 s6, hwreg(HW_REG_IB_STS2, 6, 4)
	s_mul_i32 s2, ttmp9, s2
	v_mul_u32_u24_e32 v1, 3, v0
	s_add_co_i32 s3, s3, s2
	s_cmp_eq_u32 s6, 0
	s_cselect_b32 s2, ttmp9, s3
	s_mov_b32 s3, 0
	s_mulk_i32 s2, 0x300
	s_delay_alu instid0(SALU_CYCLE_1)
	s_lshl_b64 s[2:3], s[2:3], 4
	s_wait_kmcnt 0x0
	s_add_nc_u64 s[4:5], s[4:5], s[2:3]
	s_clause 0x2
	global_load_b128 v[2:5], v1, s[4:5] offset:32 scale_offset
	global_load_b128 v[6:9], v1, s[4:5] offset:16 scale_offset
	global_load_b128 v[10:13], v1, s[4:5] scale_offset
	s_wait_xcnt 0x0
	v_lshrrev_b32_e32 v1, 6, v0
	s_movk_i32 s4, 0x64
	s_delay_alu instid0(VALU_DEP_1) | instskip(SKIP_1) | instid1(VALU_DEP_2)
	v_mul_u32_u24_e32 v14, 0xc0, v1
	v_mbcnt_lo_u32_b32 v1, -1, 0
	v_lshlrev_b32_e32 v15, 4, v14
	s_delay_alu instid0(VALU_DEP_1)
	v_mad_u32_u24 v14, v1, 48, v15
	v_lshl_or_b32 v15, v1, 4, v15
.LBB86_1:                               ; =>This Inner Loop Header: Depth=1
	s_wait_loadcnt 0x0
	ds_store_b128 v14, v[10:13]
	ds_store_b128 v14, v[6:9] offset:16
	ds_store_b128 v14, v[2:5] offset:32
	; wave barrier
	ds_load_b128 v[10:13], v15
	ds_load_b128 v[6:9], v15 offset:1024
	ds_load_b128 v[2:5], v15 offset:2048
	s_add_co_i32 s4, s4, -1
	s_wait_dscnt 0x0
	s_cmp_lg_u32 s4, 0
	s_barrier_signal -1
	s_barrier_wait -1
	s_cbranch_scc1 .LBB86_1
; %bb.2:
	s_load_b64 s[0:1], s[0:1], 0x10
	v_and_b32_e32 v14, 0xc0, v0
	v_dual_mov_b32 v1, 0 :: v_dual_lshlrev_b32 v0, 4, v1
	s_delay_alu instid0(VALU_DEP_2)
	v_mul_u32_u24_e32 v16, 3, v14
	s_wait_kmcnt 0x0
	s_add_nc_u64 s[0:1], s[0:1], s[2:3]
	s_delay_alu instid0(VALU_DEP_2) | instid1(SALU_CYCLE_1)
	v_add_nc_u64_e32 v[14:15], s[0:1], v[0:1]
	s_delay_alu instid0(VALU_DEP_2) | instskip(NEXT) | instid1(VALU_DEP_1)
	v_lshlrev_b32_e32 v0, 4, v16
	v_add_nc_u64_e32 v[0:1], v[14:15], v[0:1]
	s_clause 0x2
	global_store_b128 v[0:1], v[10:13], off
	global_store_b128 v[0:1], v[6:9], off offset:1024
	global_store_b128 v[0:1], v[2:5], off offset:2048
	s_endpgm
	.section	.rodata,"a",@progbits
	.p2align	6, 0x0
	.amdhsa_kernel _Z6kernelI23blocked_to_warp_stripedN15benchmark_utils11custom_typeIddEELj256ELj3ELj100EEvPKT0_PKjPS4_
		.amdhsa_group_segment_fixed_size 12288
		.amdhsa_private_segment_fixed_size 0
		.amdhsa_kernarg_size 24
		.amdhsa_user_sgpr_count 2
		.amdhsa_user_sgpr_dispatch_ptr 0
		.amdhsa_user_sgpr_queue_ptr 0
		.amdhsa_user_sgpr_kernarg_segment_ptr 1
		.amdhsa_user_sgpr_dispatch_id 0
		.amdhsa_user_sgpr_kernarg_preload_length 0
		.amdhsa_user_sgpr_kernarg_preload_offset 0
		.amdhsa_user_sgpr_private_segment_size 0
		.amdhsa_wavefront_size32 1
		.amdhsa_uses_dynamic_stack 0
		.amdhsa_enable_private_segment 0
		.amdhsa_system_sgpr_workgroup_id_x 1
		.amdhsa_system_sgpr_workgroup_id_y 0
		.amdhsa_system_sgpr_workgroup_id_z 0
		.amdhsa_system_sgpr_workgroup_info 0
		.amdhsa_system_vgpr_workitem_id 0
		.amdhsa_next_free_vgpr 17
		.amdhsa_next_free_sgpr 7
		.amdhsa_named_barrier_count 0
		.amdhsa_reserve_vcc 0
		.amdhsa_float_round_mode_32 0
		.amdhsa_float_round_mode_16_64 0
		.amdhsa_float_denorm_mode_32 3
		.amdhsa_float_denorm_mode_16_64 3
		.amdhsa_fp16_overflow 0
		.amdhsa_memory_ordered 1
		.amdhsa_forward_progress 1
		.amdhsa_inst_pref_size 3
		.amdhsa_round_robin_scheduling 0
		.amdhsa_exception_fp_ieee_invalid_op 0
		.amdhsa_exception_fp_denorm_src 0
		.amdhsa_exception_fp_ieee_div_zero 0
		.amdhsa_exception_fp_ieee_overflow 0
		.amdhsa_exception_fp_ieee_underflow 0
		.amdhsa_exception_fp_ieee_inexact 0
		.amdhsa_exception_int_div_zero 0
	.end_amdhsa_kernel
	.section	.text._Z6kernelI23blocked_to_warp_stripedN15benchmark_utils11custom_typeIddEELj256ELj3ELj100EEvPKT0_PKjPS4_,"axG",@progbits,_Z6kernelI23blocked_to_warp_stripedN15benchmark_utils11custom_typeIddEELj256ELj3ELj100EEvPKT0_PKjPS4_,comdat
.Lfunc_end86:
	.size	_Z6kernelI23blocked_to_warp_stripedN15benchmark_utils11custom_typeIddEELj256ELj3ELj100EEvPKT0_PKjPS4_, .Lfunc_end86-_Z6kernelI23blocked_to_warp_stripedN15benchmark_utils11custom_typeIddEELj256ELj3ELj100EEvPKT0_PKjPS4_
                                        ; -- End function
	.set _Z6kernelI23blocked_to_warp_stripedN15benchmark_utils11custom_typeIddEELj256ELj3ELj100EEvPKT0_PKjPS4_.num_vgpr, 17
	.set _Z6kernelI23blocked_to_warp_stripedN15benchmark_utils11custom_typeIddEELj256ELj3ELj100EEvPKT0_PKjPS4_.num_agpr, 0
	.set _Z6kernelI23blocked_to_warp_stripedN15benchmark_utils11custom_typeIddEELj256ELj3ELj100EEvPKT0_PKjPS4_.numbered_sgpr, 7
	.set _Z6kernelI23blocked_to_warp_stripedN15benchmark_utils11custom_typeIddEELj256ELj3ELj100EEvPKT0_PKjPS4_.num_named_barrier, 0
	.set _Z6kernelI23blocked_to_warp_stripedN15benchmark_utils11custom_typeIddEELj256ELj3ELj100EEvPKT0_PKjPS4_.private_seg_size, 0
	.set _Z6kernelI23blocked_to_warp_stripedN15benchmark_utils11custom_typeIddEELj256ELj3ELj100EEvPKT0_PKjPS4_.uses_vcc, 0
	.set _Z6kernelI23blocked_to_warp_stripedN15benchmark_utils11custom_typeIddEELj256ELj3ELj100EEvPKT0_PKjPS4_.uses_flat_scratch, 0
	.set _Z6kernelI23blocked_to_warp_stripedN15benchmark_utils11custom_typeIddEELj256ELj3ELj100EEvPKT0_PKjPS4_.has_dyn_sized_stack, 0
	.set _Z6kernelI23blocked_to_warp_stripedN15benchmark_utils11custom_typeIddEELj256ELj3ELj100EEvPKT0_PKjPS4_.has_recursion, 0
	.set _Z6kernelI23blocked_to_warp_stripedN15benchmark_utils11custom_typeIddEELj256ELj3ELj100EEvPKT0_PKjPS4_.has_indirect_call, 0
	.section	.AMDGPU.csdata,"",@progbits
; Kernel info:
; codeLenInByte = 348
; TotalNumSgprs: 7
; NumVgprs: 17
; ScratchSize: 0
; MemoryBound: 0
; FloatMode: 240
; IeeeMode: 1
; LDSByteSize: 12288 bytes/workgroup (compile time only)
; SGPRBlocks: 0
; VGPRBlocks: 1
; NumSGPRsForWavesPerEU: 7
; NumVGPRsForWavesPerEU: 17
; NamedBarCnt: 0
; Occupancy: 16
; WaveLimiterHint : 1
; COMPUTE_PGM_RSRC2:SCRATCH_EN: 0
; COMPUTE_PGM_RSRC2:USER_SGPR: 2
; COMPUTE_PGM_RSRC2:TRAP_HANDLER: 0
; COMPUTE_PGM_RSRC2:TGID_X_EN: 1
; COMPUTE_PGM_RSRC2:TGID_Y_EN: 0
; COMPUTE_PGM_RSRC2:TGID_Z_EN: 0
; COMPUTE_PGM_RSRC2:TIDIG_COMP_CNT: 0
	.section	.text._Z6kernelI23blocked_to_warp_stripedN15benchmark_utils11custom_typeIddEELj256ELj4ELj100EEvPKT0_PKjPS4_,"axG",@progbits,_Z6kernelI23blocked_to_warp_stripedN15benchmark_utils11custom_typeIddEELj256ELj4ELj100EEvPKT0_PKjPS4_,comdat
	.protected	_Z6kernelI23blocked_to_warp_stripedN15benchmark_utils11custom_typeIddEELj256ELj4ELj100EEvPKT0_PKjPS4_ ; -- Begin function _Z6kernelI23blocked_to_warp_stripedN15benchmark_utils11custom_typeIddEELj256ELj4ELj100EEvPKT0_PKjPS4_
	.globl	_Z6kernelI23blocked_to_warp_stripedN15benchmark_utils11custom_typeIddEELj256ELj4ELj100EEvPKT0_PKjPS4_
	.p2align	8
	.type	_Z6kernelI23blocked_to_warp_stripedN15benchmark_utils11custom_typeIddEELj256ELj4ELj100EEvPKT0_PKjPS4_,@function
_Z6kernelI23blocked_to_warp_stripedN15benchmark_utils11custom_typeIddEELj256ELj4ELj100EEvPKT0_PKjPS4_: ; @_Z6kernelI23blocked_to_warp_stripedN15benchmark_utils11custom_typeIddEELj256ELj4ELj100EEvPKT0_PKjPS4_
; %bb.0:
	s_load_b64 s[4:5], s[0:1], 0x0
	s_bfe_u32 s2, ttmp6, 0x4000c
	s_and_b32 s3, ttmp6, 15
	s_add_co_i32 s2, s2, 1
	s_getreg_b32 s6, hwreg(HW_REG_IB_STS2, 6, 4)
	s_mul_i32 s2, ttmp9, s2
	v_lshlrev_b32_e32 v1, 6, v0
	s_add_co_i32 s3, s3, s2
	s_cmp_eq_u32 s6, 0
	s_cselect_b32 s2, ttmp9, s3
	s_mov_b32 s3, 0
	s_lshl_b32 s2, s2, 10
	s_delay_alu instid0(SALU_CYCLE_1)
	s_lshl_b64 s[2:3], s[2:3], 4
	s_wait_kmcnt 0x0
	s_add_nc_u64 s[4:5], s[4:5], s[2:3]
	s_clause 0x3
	global_load_b128 v[2:5], v1, s[4:5] offset:48
	global_load_b128 v[6:9], v1, s[4:5] offset:32
	;; [unrolled: 1-line block ×3, first 2 shown]
	global_load_b128 v[14:17], v1, s[4:5]
	s_wait_xcnt 0x0
	v_mbcnt_lo_u32_b32 v1, -1, 0
	s_movk_i32 s4, 0x64
	s_delay_alu instid0(VALU_DEP_1) | instskip(SKIP_1) | instid1(VALU_DEP_1)
	v_and_or_b32 v18, 0xc0, v0, v1
	v_lshlrev_b32_e32 v0, 2, v0
	v_and_b32_e32 v0, 0x300, v0
	s_delay_alu instid0(VALU_DEP_1)
	v_dual_lshlrev_b32 v19, 1, v18 :: v_dual_bitop2_b32 v21, v1, v0 bitop3:0x54
	v_lshrrev_b16 v20, 1, v0
	v_or_b32_e32 v22, 64, v0
	v_or_b32_e32 v23, 0x80, v0
	;; [unrolled: 1-line block ×3, first 2 shown]
	v_and_b32_e32 v19, 0x1b0, v19
	v_and_b32_e32 v20, 0xffff, v20
	v_dual_lshlrev_b32 v25, 4, v21 :: v_dual_lshrrev_b32 v21, 1, v22
	s_delay_alu instid0(VALU_DEP_4) | instskip(NEXT) | instid1(VALU_DEP_4)
	v_dual_lshrrev_b32 v22, 1, v23 :: v_dual_lshrrev_b32 v23, 1, v24
	v_lshl_add_u32 v18, v18, 6, v19
	s_delay_alu instid0(VALU_DEP_3) | instskip(NEXT) | instid1(VALU_DEP_3)
	v_dual_add_nc_u32 v19, v20, v25 :: v_dual_add_nc_u32 v20, v21, v25
	v_dual_add_nc_u32 v21, v22, v25 :: v_dual_add_nc_u32 v22, v23, v25
.LBB87_1:                               ; =>This Inner Loop Header: Depth=1
	s_wait_loadcnt 0x0
	ds_store_b128 v18, v[14:17]
	ds_store_b128 v18, v[10:13] offset:16
	ds_store_b128 v18, v[6:9] offset:32
	;; [unrolled: 1-line block ×3, first 2 shown]
	; wave barrier
	ds_load_b128 v[14:17], v19
	ds_load_b128 v[10:13], v20 offset:1024
	ds_load_b128 v[6:9], v21 offset:2048
	;; [unrolled: 1-line block ×3, first 2 shown]
	s_add_co_i32 s4, s4, -1
	s_wait_dscnt 0x0
	s_cmp_lg_u32 s4, 0
	s_barrier_signal -1
	s_barrier_wait -1
	s_cbranch_scc1 .LBB87_1
; %bb.2:
	s_load_b64 s[0:1], s[0:1], 0x10
	v_dual_mov_b32 v19, 0 :: v_dual_lshlrev_b32 v18, 4, v1
	s_wait_kmcnt 0x0
	s_add_nc_u64 s[0:1], s[0:1], s[2:3]
	s_delay_alu instid0(VALU_DEP_1) | instid1(SALU_CYCLE_1)
	v_add_nc_u64_e32 v[20:21], s[0:1], v[18:19]
	v_lshlrev_b32_e32 v18, 4, v0
	s_delay_alu instid0(VALU_DEP_1)
	v_add_nc_u64_e32 v[0:1], v[20:21], v[18:19]
	s_clause 0x3
	global_store_b128 v[0:1], v[14:17], off
	global_store_b128 v[0:1], v[10:13], off offset:1024
	global_store_b128 v[0:1], v[6:9], off offset:2048
	;; [unrolled: 1-line block ×3, first 2 shown]
	s_endpgm
	.section	.rodata,"a",@progbits
	.p2align	6, 0x0
	.amdhsa_kernel _Z6kernelI23blocked_to_warp_stripedN15benchmark_utils11custom_typeIddEELj256ELj4ELj100EEvPKT0_PKjPS4_
		.amdhsa_group_segment_fixed_size 16896
		.amdhsa_private_segment_fixed_size 0
		.amdhsa_kernarg_size 24
		.amdhsa_user_sgpr_count 2
		.amdhsa_user_sgpr_dispatch_ptr 0
		.amdhsa_user_sgpr_queue_ptr 0
		.amdhsa_user_sgpr_kernarg_segment_ptr 1
		.amdhsa_user_sgpr_dispatch_id 0
		.amdhsa_user_sgpr_kernarg_preload_length 0
		.amdhsa_user_sgpr_kernarg_preload_offset 0
		.amdhsa_user_sgpr_private_segment_size 0
		.amdhsa_wavefront_size32 1
		.amdhsa_uses_dynamic_stack 0
		.amdhsa_enable_private_segment 0
		.amdhsa_system_sgpr_workgroup_id_x 1
		.amdhsa_system_sgpr_workgroup_id_y 0
		.amdhsa_system_sgpr_workgroup_id_z 0
		.amdhsa_system_sgpr_workgroup_info 0
		.amdhsa_system_vgpr_workitem_id 0
		.amdhsa_next_free_vgpr 26
		.amdhsa_next_free_sgpr 7
		.amdhsa_named_barrier_count 0
		.amdhsa_reserve_vcc 0
		.amdhsa_float_round_mode_32 0
		.amdhsa_float_round_mode_16_64 0
		.amdhsa_float_denorm_mode_32 3
		.amdhsa_float_denorm_mode_16_64 3
		.amdhsa_fp16_overflow 0
		.amdhsa_memory_ordered 1
		.amdhsa_forward_progress 1
		.amdhsa_inst_pref_size 4
		.amdhsa_round_robin_scheduling 0
		.amdhsa_exception_fp_ieee_invalid_op 0
		.amdhsa_exception_fp_denorm_src 0
		.amdhsa_exception_fp_ieee_div_zero 0
		.amdhsa_exception_fp_ieee_overflow 0
		.amdhsa_exception_fp_ieee_underflow 0
		.amdhsa_exception_fp_ieee_inexact 0
		.amdhsa_exception_int_div_zero 0
	.end_amdhsa_kernel
	.section	.text._Z6kernelI23blocked_to_warp_stripedN15benchmark_utils11custom_typeIddEELj256ELj4ELj100EEvPKT0_PKjPS4_,"axG",@progbits,_Z6kernelI23blocked_to_warp_stripedN15benchmark_utils11custom_typeIddEELj256ELj4ELj100EEvPKT0_PKjPS4_,comdat
.Lfunc_end87:
	.size	_Z6kernelI23blocked_to_warp_stripedN15benchmark_utils11custom_typeIddEELj256ELj4ELj100EEvPKT0_PKjPS4_, .Lfunc_end87-_Z6kernelI23blocked_to_warp_stripedN15benchmark_utils11custom_typeIddEELj256ELj4ELj100EEvPKT0_PKjPS4_
                                        ; -- End function
	.set _Z6kernelI23blocked_to_warp_stripedN15benchmark_utils11custom_typeIddEELj256ELj4ELj100EEvPKT0_PKjPS4_.num_vgpr, 26
	.set _Z6kernelI23blocked_to_warp_stripedN15benchmark_utils11custom_typeIddEELj256ELj4ELj100EEvPKT0_PKjPS4_.num_agpr, 0
	.set _Z6kernelI23blocked_to_warp_stripedN15benchmark_utils11custom_typeIddEELj256ELj4ELj100EEvPKT0_PKjPS4_.numbered_sgpr, 7
	.set _Z6kernelI23blocked_to_warp_stripedN15benchmark_utils11custom_typeIddEELj256ELj4ELj100EEvPKT0_PKjPS4_.num_named_barrier, 0
	.set _Z6kernelI23blocked_to_warp_stripedN15benchmark_utils11custom_typeIddEELj256ELj4ELj100EEvPKT0_PKjPS4_.private_seg_size, 0
	.set _Z6kernelI23blocked_to_warp_stripedN15benchmark_utils11custom_typeIddEELj256ELj4ELj100EEvPKT0_PKjPS4_.uses_vcc, 0
	.set _Z6kernelI23blocked_to_warp_stripedN15benchmark_utils11custom_typeIddEELj256ELj4ELj100EEvPKT0_PKjPS4_.uses_flat_scratch, 0
	.set _Z6kernelI23blocked_to_warp_stripedN15benchmark_utils11custom_typeIddEELj256ELj4ELj100EEvPKT0_PKjPS4_.has_dyn_sized_stack, 0
	.set _Z6kernelI23blocked_to_warp_stripedN15benchmark_utils11custom_typeIddEELj256ELj4ELj100EEvPKT0_PKjPS4_.has_recursion, 0
	.set _Z6kernelI23blocked_to_warp_stripedN15benchmark_utils11custom_typeIddEELj256ELj4ELj100EEvPKT0_PKjPS4_.has_indirect_call, 0
	.section	.AMDGPU.csdata,"",@progbits
; Kernel info:
; codeLenInByte = 484
; TotalNumSgprs: 7
; NumVgprs: 26
; ScratchSize: 0
; MemoryBound: 0
; FloatMode: 240
; IeeeMode: 1
; LDSByteSize: 16896 bytes/workgroup (compile time only)
; SGPRBlocks: 0
; VGPRBlocks: 1
; NumSGPRsForWavesPerEU: 7
; NumVGPRsForWavesPerEU: 26
; NamedBarCnt: 0
; Occupancy: 16
; WaveLimiterHint : 1
; COMPUTE_PGM_RSRC2:SCRATCH_EN: 0
; COMPUTE_PGM_RSRC2:USER_SGPR: 2
; COMPUTE_PGM_RSRC2:TRAP_HANDLER: 0
; COMPUTE_PGM_RSRC2:TGID_X_EN: 1
; COMPUTE_PGM_RSRC2:TGID_Y_EN: 0
; COMPUTE_PGM_RSRC2:TGID_Z_EN: 0
; COMPUTE_PGM_RSRC2:TIDIG_COMP_CNT: 0
	.section	.text._Z6kernelI23blocked_to_warp_stripedN15benchmark_utils11custom_typeIddEELj256ELj7ELj100EEvPKT0_PKjPS4_,"axG",@progbits,_Z6kernelI23blocked_to_warp_stripedN15benchmark_utils11custom_typeIddEELj256ELj7ELj100EEvPKT0_PKjPS4_,comdat
	.protected	_Z6kernelI23blocked_to_warp_stripedN15benchmark_utils11custom_typeIddEELj256ELj7ELj100EEvPKT0_PKjPS4_ ; -- Begin function _Z6kernelI23blocked_to_warp_stripedN15benchmark_utils11custom_typeIddEELj256ELj7ELj100EEvPKT0_PKjPS4_
	.globl	_Z6kernelI23blocked_to_warp_stripedN15benchmark_utils11custom_typeIddEELj256ELj7ELj100EEvPKT0_PKjPS4_
	.p2align	8
	.type	_Z6kernelI23blocked_to_warp_stripedN15benchmark_utils11custom_typeIddEELj256ELj7ELj100EEvPKT0_PKjPS4_,@function
_Z6kernelI23blocked_to_warp_stripedN15benchmark_utils11custom_typeIddEELj256ELj7ELj100EEvPKT0_PKjPS4_: ; @_Z6kernelI23blocked_to_warp_stripedN15benchmark_utils11custom_typeIddEELj256ELj7ELj100EEvPKT0_PKjPS4_
; %bb.0:
	s_load_b64 s[4:5], s[0:1], 0x0
	s_bfe_u32 s2, ttmp6, 0x4000c
	s_and_b32 s3, ttmp6, 15
	s_add_co_i32 s2, s2, 1
	s_getreg_b32 s6, hwreg(HW_REG_IB_STS2, 6, 4)
	s_mul_i32 s2, ttmp9, s2
	v_mul_u32_u24_e32 v1, 7, v0
	s_add_co_i32 s3, s3, s2
	s_cmp_eq_u32 s6, 0
	s_cselect_b32 s2, ttmp9, s3
	s_mov_b32 s3, 0
	s_mulk_i32 s2, 0x700
	s_delay_alu instid0(SALU_CYCLE_1)
	s_lshl_b64 s[2:3], s[2:3], 4
	s_wait_kmcnt 0x0
	s_add_nc_u64 s[4:5], s[4:5], s[2:3]
	s_clause 0x6
	global_load_b128 v[2:5], v1, s[4:5] offset:48 scale_offset
	global_load_b128 v[6:9], v1, s[4:5] offset:32 scale_offset
	global_load_b128 v[10:13], v1, s[4:5] offset:16 scale_offset
	global_load_b128 v[14:17], v1, s[4:5] scale_offset
	global_load_b128 v[18:21], v1, s[4:5] offset:96 scale_offset
	global_load_b128 v[22:25], v1, s[4:5] offset:80 scale_offset
	;; [unrolled: 1-line block ×3, first 2 shown]
	s_wait_xcnt 0x0
	v_lshrrev_b32_e32 v1, 6, v0
	s_movk_i32 s4, 0x64
	s_delay_alu instid0(VALU_DEP_1) | instskip(SKIP_1) | instid1(VALU_DEP_2)
	v_mul_u32_u24_e32 v30, 0x1c0, v1
	v_mbcnt_lo_u32_b32 v1, -1, 0
	v_lshlrev_b32_e32 v31, 4, v30
	s_delay_alu instid0(VALU_DEP_1)
	v_mad_u32_u24 v30, 0x70, v1, v31
	v_lshl_or_b32 v31, v1, 4, v31
.LBB88_1:                               ; =>This Inner Loop Header: Depth=1
	s_wait_loadcnt 0x3
	ds_store_b128 v30, v[14:17]
	ds_store_b128 v30, v[10:13] offset:16
	ds_store_b128 v30, v[6:9] offset:32
	;; [unrolled: 1-line block ×3, first 2 shown]
	s_wait_loadcnt 0x0
	ds_store_b128 v30, v[26:29] offset:64
	ds_store_b128 v30, v[22:25] offset:80
	;; [unrolled: 1-line block ×3, first 2 shown]
	; wave barrier
	ds_load_b128 v[14:17], v31
	ds_load_b128 v[10:13], v31 offset:1024
	ds_load_b128 v[6:9], v31 offset:2048
	;; [unrolled: 1-line block ×6, first 2 shown]
	s_add_co_i32 s4, s4, -1
	s_wait_dscnt 0x0
	s_cmp_lg_u32 s4, 0
	s_barrier_signal -1
	s_barrier_wait -1
	s_cbranch_scc1 .LBB88_1
; %bb.2:
	s_load_b64 s[0:1], s[0:1], 0x10
	v_and_b32_e32 v30, 0xc0, v0
	v_dual_mov_b32 v1, 0 :: v_dual_lshlrev_b32 v0, 4, v1
	s_delay_alu instid0(VALU_DEP_2)
	v_mul_u32_u24_e32 v32, 7, v30
	s_wait_kmcnt 0x0
	s_add_nc_u64 s[0:1], s[0:1], s[2:3]
	s_delay_alu instid0(VALU_DEP_2) | instid1(SALU_CYCLE_1)
	v_add_nc_u64_e32 v[30:31], s[0:1], v[0:1]
	s_delay_alu instid0(VALU_DEP_2) | instskip(NEXT) | instid1(VALU_DEP_1)
	v_lshlrev_b32_e32 v0, 4, v32
	v_add_nc_u64_e32 v[0:1], v[30:31], v[0:1]
	s_clause 0x6
	global_store_b128 v[0:1], v[14:17], off
	global_store_b128 v[0:1], v[10:13], off offset:1024
	global_store_b128 v[0:1], v[6:9], off offset:2048
	;; [unrolled: 1-line block ×6, first 2 shown]
	s_endpgm
	.section	.rodata,"a",@progbits
	.p2align	6, 0x0
	.amdhsa_kernel _Z6kernelI23blocked_to_warp_stripedN15benchmark_utils11custom_typeIddEELj256ELj7ELj100EEvPKT0_PKjPS4_
		.amdhsa_group_segment_fixed_size 28672
		.amdhsa_private_segment_fixed_size 0
		.amdhsa_kernarg_size 24
		.amdhsa_user_sgpr_count 2
		.amdhsa_user_sgpr_dispatch_ptr 0
		.amdhsa_user_sgpr_queue_ptr 0
		.amdhsa_user_sgpr_kernarg_segment_ptr 1
		.amdhsa_user_sgpr_dispatch_id 0
		.amdhsa_user_sgpr_kernarg_preload_length 0
		.amdhsa_user_sgpr_kernarg_preload_offset 0
		.amdhsa_user_sgpr_private_segment_size 0
		.amdhsa_wavefront_size32 1
		.amdhsa_uses_dynamic_stack 0
		.amdhsa_enable_private_segment 0
		.amdhsa_system_sgpr_workgroup_id_x 1
		.amdhsa_system_sgpr_workgroup_id_y 0
		.amdhsa_system_sgpr_workgroup_id_z 0
		.amdhsa_system_sgpr_workgroup_info 0
		.amdhsa_system_vgpr_workitem_id 0
		.amdhsa_next_free_vgpr 33
		.amdhsa_next_free_sgpr 7
		.amdhsa_named_barrier_count 0
		.amdhsa_reserve_vcc 0
		.amdhsa_float_round_mode_32 0
		.amdhsa_float_round_mode_16_64 0
		.amdhsa_float_denorm_mode_32 3
		.amdhsa_float_denorm_mode_16_64 3
		.amdhsa_fp16_overflow 0
		.amdhsa_memory_ordered 1
		.amdhsa_forward_progress 1
		.amdhsa_inst_pref_size 5
		.amdhsa_round_robin_scheduling 0
		.amdhsa_exception_fp_ieee_invalid_op 0
		.amdhsa_exception_fp_denorm_src 0
		.amdhsa_exception_fp_ieee_div_zero 0
		.amdhsa_exception_fp_ieee_overflow 0
		.amdhsa_exception_fp_ieee_underflow 0
		.amdhsa_exception_fp_ieee_inexact 0
		.amdhsa_exception_int_div_zero 0
	.end_amdhsa_kernel
	.section	.text._Z6kernelI23blocked_to_warp_stripedN15benchmark_utils11custom_typeIddEELj256ELj7ELj100EEvPKT0_PKjPS4_,"axG",@progbits,_Z6kernelI23blocked_to_warp_stripedN15benchmark_utils11custom_typeIddEELj256ELj7ELj100EEvPKT0_PKjPS4_,comdat
.Lfunc_end88:
	.size	_Z6kernelI23blocked_to_warp_stripedN15benchmark_utils11custom_typeIddEELj256ELj7ELj100EEvPKT0_PKjPS4_, .Lfunc_end88-_Z6kernelI23blocked_to_warp_stripedN15benchmark_utils11custom_typeIddEELj256ELj7ELj100EEvPKT0_PKjPS4_
                                        ; -- End function
	.set _Z6kernelI23blocked_to_warp_stripedN15benchmark_utils11custom_typeIddEELj256ELj7ELj100EEvPKT0_PKjPS4_.num_vgpr, 33
	.set _Z6kernelI23blocked_to_warp_stripedN15benchmark_utils11custom_typeIddEELj256ELj7ELj100EEvPKT0_PKjPS4_.num_agpr, 0
	.set _Z6kernelI23blocked_to_warp_stripedN15benchmark_utils11custom_typeIddEELj256ELj7ELj100EEvPKT0_PKjPS4_.numbered_sgpr, 7
	.set _Z6kernelI23blocked_to_warp_stripedN15benchmark_utils11custom_typeIddEELj256ELj7ELj100EEvPKT0_PKjPS4_.num_named_barrier, 0
	.set _Z6kernelI23blocked_to_warp_stripedN15benchmark_utils11custom_typeIddEELj256ELj7ELj100EEvPKT0_PKjPS4_.private_seg_size, 0
	.set _Z6kernelI23blocked_to_warp_stripedN15benchmark_utils11custom_typeIddEELj256ELj7ELj100EEvPKT0_PKjPS4_.uses_vcc, 0
	.set _Z6kernelI23blocked_to_warp_stripedN15benchmark_utils11custom_typeIddEELj256ELj7ELj100EEvPKT0_PKjPS4_.uses_flat_scratch, 0
	.set _Z6kernelI23blocked_to_warp_stripedN15benchmark_utils11custom_typeIddEELj256ELj7ELj100EEvPKT0_PKjPS4_.has_dyn_sized_stack, 0
	.set _Z6kernelI23blocked_to_warp_stripedN15benchmark_utils11custom_typeIddEELj256ELj7ELj100EEvPKT0_PKjPS4_.has_recursion, 0
	.set _Z6kernelI23blocked_to_warp_stripedN15benchmark_utils11custom_typeIddEELj256ELj7ELj100EEvPKT0_PKjPS4_.has_indirect_call, 0
	.section	.AMDGPU.csdata,"",@progbits
; Kernel info:
; codeLenInByte = 516
; TotalNumSgprs: 7
; NumVgprs: 33
; ScratchSize: 0
; MemoryBound: 1
; FloatMode: 240
; IeeeMode: 1
; LDSByteSize: 28672 bytes/workgroup (compile time only)
; SGPRBlocks: 0
; VGPRBlocks: 2
; NumSGPRsForWavesPerEU: 7
; NumVGPRsForWavesPerEU: 33
; NamedBarCnt: 0
; Occupancy: 16
; WaveLimiterHint : 1
; COMPUTE_PGM_RSRC2:SCRATCH_EN: 0
; COMPUTE_PGM_RSRC2:USER_SGPR: 2
; COMPUTE_PGM_RSRC2:TRAP_HANDLER: 0
; COMPUTE_PGM_RSRC2:TGID_X_EN: 1
; COMPUTE_PGM_RSRC2:TGID_Y_EN: 0
; COMPUTE_PGM_RSRC2:TGID_Z_EN: 0
; COMPUTE_PGM_RSRC2:TIDIG_COMP_CNT: 0
	.section	.text._Z6kernelI23blocked_to_warp_stripedN15benchmark_utils11custom_typeIddEELj256ELj8ELj100EEvPKT0_PKjPS4_,"axG",@progbits,_Z6kernelI23blocked_to_warp_stripedN15benchmark_utils11custom_typeIddEELj256ELj8ELj100EEvPKT0_PKjPS4_,comdat
	.protected	_Z6kernelI23blocked_to_warp_stripedN15benchmark_utils11custom_typeIddEELj256ELj8ELj100EEvPKT0_PKjPS4_ ; -- Begin function _Z6kernelI23blocked_to_warp_stripedN15benchmark_utils11custom_typeIddEELj256ELj8ELj100EEvPKT0_PKjPS4_
	.globl	_Z6kernelI23blocked_to_warp_stripedN15benchmark_utils11custom_typeIddEELj256ELj8ELj100EEvPKT0_PKjPS4_
	.p2align	8
	.type	_Z6kernelI23blocked_to_warp_stripedN15benchmark_utils11custom_typeIddEELj256ELj8ELj100EEvPKT0_PKjPS4_,@function
_Z6kernelI23blocked_to_warp_stripedN15benchmark_utils11custom_typeIddEELj256ELj8ELj100EEvPKT0_PKjPS4_: ; @_Z6kernelI23blocked_to_warp_stripedN15benchmark_utils11custom_typeIddEELj256ELj8ELj100EEvPKT0_PKjPS4_
; %bb.0:
	s_load_b64 s[4:5], s[0:1], 0x0
	s_bfe_u32 s2, ttmp6, 0x4000c
	s_and_b32 s3, ttmp6, 15
	s_add_co_i32 s2, s2, 1
	s_getreg_b32 s6, hwreg(HW_REG_IB_STS2, 6, 4)
	s_mul_i32 s2, ttmp9, s2
	v_dual_lshlrev_b32 v1, 7, v0 :: v_dual_lshlrev_b32 v34, 3, v0
	s_add_co_i32 s3, s3, s2
	s_cmp_eq_u32 s6, 0
	s_cselect_b32 s2, ttmp9, s3
	s_mov_b32 s3, 0
	s_lshl_b32 s2, s2, 11
	s_delay_alu instid0(SALU_CYCLE_1)
	s_lshl_b64 s[2:3], s[2:3], 4
	s_wait_kmcnt 0x0
	s_add_nc_u64 s[4:5], s[4:5], s[2:3]
	s_clause 0x7
	global_load_b128 v[2:5], v1, s[4:5] offset:48
	global_load_b128 v[6:9], v1, s[4:5] offset:32
	;; [unrolled: 1-line block ×3, first 2 shown]
	global_load_b128 v[14:17], v1, s[4:5]
	global_load_b128 v[18:21], v1, s[4:5] offset:112
	global_load_b128 v[22:25], v1, s[4:5] offset:96
	;; [unrolled: 1-line block ×4, first 2 shown]
	s_wait_xcnt 0x0
	v_mbcnt_lo_u32_b32 v1, -1, 0
	s_movk_i32 s4, 0x64
	s_delay_alu instid0(VALU_DEP_1) | instskip(SKIP_1) | instid1(VALU_DEP_1)
	v_and_or_b32 v35, 0xc0, v0, v1
	v_and_b32_e32 v0, 0x600, v34
	v_dual_lshlrev_b32 v34, 2, v35 :: v_dual_bitop2_b32 v37, v1, v0 bitop3:0x54
	v_lshrrev_b16 v36, 1, v0
	v_or_b32_e32 v38, 64, v0
	v_or_b32_e32 v39, 0x80, v0
	s_delay_alu instid0(VALU_DEP_4) | instskip(SKIP_2) | instid1(VALU_DEP_4)
	v_and_b32_e32 v34, 0x370, v34
	v_lshlrev_b32_e32 v42, 4, v37
	v_and_b32_e32 v36, 0xffff, v36
	v_dual_lshrrev_b32 v37, 1, v38 :: v_dual_lshrrev_b32 v38, 1, v39
	s_delay_alu instid0(VALU_DEP_4) | instskip(SKIP_1) | instid1(VALU_DEP_3)
	v_lshl_add_u32 v34, v35, 7, v34
	v_or_b32_e32 v39, 0x100, v0
	v_dual_add_nc_u32 v35, v36, v42 :: v_dual_add_nc_u32 v36, v37, v42
	s_delay_alu instid0(VALU_DEP_4) | instskip(SKIP_4) | instid1(VALU_DEP_4)
	v_add_nc_u32_e32 v37, v38, v42
	v_or_b32_e32 v38, 0xc0, v0
	v_or_b32_e32 v40, 0x140, v0
	;; [unrolled: 1-line block ×4, first 2 shown]
	v_dual_lshrrev_b32 v39, 1, v39 :: v_dual_lshrrev_b32 v38, 1, v38
	s_delay_alu instid0(VALU_DEP_3) | instskip(NEXT) | instid1(VALU_DEP_2)
	v_dual_lshrrev_b32 v40, 1, v40 :: v_dual_lshrrev_b32 v41, 1, v41
	v_dual_lshrrev_b32 v43, 1, v43 :: v_dual_add_nc_u32 v39, v39, v42
	s_delay_alu instid0(VALU_DEP_2) | instskip(NEXT) | instid1(VALU_DEP_2)
	v_dual_add_nc_u32 v38, v38, v42 :: v_dual_add_nc_u32 v40, v40, v42
	v_dual_add_nc_u32 v41, v41, v42 :: v_dual_add_nc_u32 v42, v43, v42
.LBB89_1:                               ; =>This Inner Loop Header: Depth=1
	s_wait_loadcnt 0x4
	ds_store_b128 v34, v[14:17]
	ds_store_b128 v34, v[10:13] offset:16
	ds_store_b128 v34, v[6:9] offset:32
	;; [unrolled: 1-line block ×3, first 2 shown]
	s_wait_loadcnt 0x0
	ds_store_b128 v34, v[30:33] offset:64
	ds_store_b128 v34, v[26:29] offset:80
	;; [unrolled: 1-line block ×4, first 2 shown]
	; wave barrier
	ds_load_b128 v[14:17], v35
	ds_load_b128 v[10:13], v36 offset:1024
	ds_load_b128 v[6:9], v37 offset:2048
	;; [unrolled: 1-line block ×7, first 2 shown]
	s_add_co_i32 s4, s4, -1
	s_wait_dscnt 0x0
	s_cmp_lg_u32 s4, 0
	s_barrier_signal -1
	s_barrier_wait -1
	s_cbranch_scc1 .LBB89_1
; %bb.2:
	s_load_b64 s[0:1], s[0:1], 0x10
	v_dual_mov_b32 v35, 0 :: v_dual_lshlrev_b32 v34, 4, v1
	s_wait_kmcnt 0x0
	s_add_nc_u64 s[0:1], s[0:1], s[2:3]
	s_delay_alu instid0(VALU_DEP_1) | instid1(SALU_CYCLE_1)
	v_add_nc_u64_e32 v[36:37], s[0:1], v[34:35]
	v_lshlrev_b32_e32 v34, 4, v0
	s_delay_alu instid0(VALU_DEP_1)
	v_add_nc_u64_e32 v[0:1], v[36:37], v[34:35]
	s_clause 0x7
	global_store_b128 v[0:1], v[14:17], off
	global_store_b128 v[0:1], v[10:13], off offset:1024
	global_store_b128 v[0:1], v[6:9], off offset:2048
	;; [unrolled: 1-line block ×7, first 2 shown]
	s_endpgm
	.section	.rodata,"a",@progbits
	.p2align	6, 0x0
	.amdhsa_kernel _Z6kernelI23blocked_to_warp_stripedN15benchmark_utils11custom_typeIddEELj256ELj8ELj100EEvPKT0_PKjPS4_
		.amdhsa_group_segment_fixed_size 33792
		.amdhsa_private_segment_fixed_size 0
		.amdhsa_kernarg_size 24
		.amdhsa_user_sgpr_count 2
		.amdhsa_user_sgpr_dispatch_ptr 0
		.amdhsa_user_sgpr_queue_ptr 0
		.amdhsa_user_sgpr_kernarg_segment_ptr 1
		.amdhsa_user_sgpr_dispatch_id 0
		.amdhsa_user_sgpr_kernarg_preload_length 0
		.amdhsa_user_sgpr_kernarg_preload_offset 0
		.amdhsa_user_sgpr_private_segment_size 0
		.amdhsa_wavefront_size32 1
		.amdhsa_uses_dynamic_stack 0
		.amdhsa_enable_private_segment 0
		.amdhsa_system_sgpr_workgroup_id_x 1
		.amdhsa_system_sgpr_workgroup_id_y 0
		.amdhsa_system_sgpr_workgroup_id_z 0
		.amdhsa_system_sgpr_workgroup_info 0
		.amdhsa_system_vgpr_workitem_id 0
		.amdhsa_next_free_vgpr 44
		.amdhsa_next_free_sgpr 7
		.amdhsa_named_barrier_count 0
		.amdhsa_reserve_vcc 0
		.amdhsa_float_round_mode_32 0
		.amdhsa_float_round_mode_16_64 0
		.amdhsa_float_denorm_mode_32 3
		.amdhsa_float_denorm_mode_16_64 3
		.amdhsa_fp16_overflow 0
		.amdhsa_memory_ordered 1
		.amdhsa_forward_progress 1
		.amdhsa_inst_pref_size 6
		.amdhsa_round_robin_scheduling 0
		.amdhsa_exception_fp_ieee_invalid_op 0
		.amdhsa_exception_fp_denorm_src 0
		.amdhsa_exception_fp_ieee_div_zero 0
		.amdhsa_exception_fp_ieee_overflow 0
		.amdhsa_exception_fp_ieee_underflow 0
		.amdhsa_exception_fp_ieee_inexact 0
		.amdhsa_exception_int_div_zero 0
	.end_amdhsa_kernel
	.section	.text._Z6kernelI23blocked_to_warp_stripedN15benchmark_utils11custom_typeIddEELj256ELj8ELj100EEvPKT0_PKjPS4_,"axG",@progbits,_Z6kernelI23blocked_to_warp_stripedN15benchmark_utils11custom_typeIddEELj256ELj8ELj100EEvPKT0_PKjPS4_,comdat
.Lfunc_end89:
	.size	_Z6kernelI23blocked_to_warp_stripedN15benchmark_utils11custom_typeIddEELj256ELj8ELj100EEvPKT0_PKjPS4_, .Lfunc_end89-_Z6kernelI23blocked_to_warp_stripedN15benchmark_utils11custom_typeIddEELj256ELj8ELj100EEvPKT0_PKjPS4_
                                        ; -- End function
	.set _Z6kernelI23blocked_to_warp_stripedN15benchmark_utils11custom_typeIddEELj256ELj8ELj100EEvPKT0_PKjPS4_.num_vgpr, 44
	.set _Z6kernelI23blocked_to_warp_stripedN15benchmark_utils11custom_typeIddEELj256ELj8ELj100EEvPKT0_PKjPS4_.num_agpr, 0
	.set _Z6kernelI23blocked_to_warp_stripedN15benchmark_utils11custom_typeIddEELj256ELj8ELj100EEvPKT0_PKjPS4_.numbered_sgpr, 7
	.set _Z6kernelI23blocked_to_warp_stripedN15benchmark_utils11custom_typeIddEELj256ELj8ELj100EEvPKT0_PKjPS4_.num_named_barrier, 0
	.set _Z6kernelI23blocked_to_warp_stripedN15benchmark_utils11custom_typeIddEELj256ELj8ELj100EEvPKT0_PKjPS4_.private_seg_size, 0
	.set _Z6kernelI23blocked_to_warp_stripedN15benchmark_utils11custom_typeIddEELj256ELj8ELj100EEvPKT0_PKjPS4_.uses_vcc, 0
	.set _Z6kernelI23blocked_to_warp_stripedN15benchmark_utils11custom_typeIddEELj256ELj8ELj100EEvPKT0_PKjPS4_.uses_flat_scratch, 0
	.set _Z6kernelI23blocked_to_warp_stripedN15benchmark_utils11custom_typeIddEELj256ELj8ELj100EEvPKT0_PKjPS4_.has_dyn_sized_stack, 0
	.set _Z6kernelI23blocked_to_warp_stripedN15benchmark_utils11custom_typeIddEELj256ELj8ELj100EEvPKT0_PKjPS4_.has_recursion, 0
	.set _Z6kernelI23blocked_to_warp_stripedN15benchmark_utils11custom_typeIddEELj256ELj8ELj100EEvPKT0_PKjPS4_.has_indirect_call, 0
	.section	.AMDGPU.csdata,"",@progbits
; Kernel info:
; codeLenInByte = 736
; TotalNumSgprs: 7
; NumVgprs: 44
; ScratchSize: 0
; MemoryBound: 0
; FloatMode: 240
; IeeeMode: 1
; LDSByteSize: 33792 bytes/workgroup (compile time only)
; SGPRBlocks: 0
; VGPRBlocks: 2
; NumSGPRsForWavesPerEU: 7
; NumVGPRsForWavesPerEU: 44
; NamedBarCnt: 0
; Occupancy: 16
; WaveLimiterHint : 1
; COMPUTE_PGM_RSRC2:SCRATCH_EN: 0
; COMPUTE_PGM_RSRC2:USER_SGPR: 2
; COMPUTE_PGM_RSRC2:TRAP_HANDLER: 0
; COMPUTE_PGM_RSRC2:TGID_X_EN: 1
; COMPUTE_PGM_RSRC2:TGID_Y_EN: 0
; COMPUTE_PGM_RSRC2:TGID_Z_EN: 0
; COMPUTE_PGM_RSRC2:TIDIG_COMP_CNT: 0
	.section	.text._Z6kernelI23warp_striped_to_blockediLj256ELj1ELj100EEvPKT0_PKjPS1_,"axG",@progbits,_Z6kernelI23warp_striped_to_blockediLj256ELj1ELj100EEvPKT0_PKjPS1_,comdat
	.protected	_Z6kernelI23warp_striped_to_blockediLj256ELj1ELj100EEvPKT0_PKjPS1_ ; -- Begin function _Z6kernelI23warp_striped_to_blockediLj256ELj1ELj100EEvPKT0_PKjPS1_
	.globl	_Z6kernelI23warp_striped_to_blockediLj256ELj1ELj100EEvPKT0_PKjPS1_
	.p2align	8
	.type	_Z6kernelI23warp_striped_to_blockediLj256ELj1ELj100EEvPKT0_PKjPS1_,@function
_Z6kernelI23warp_striped_to_blockediLj256ELj1ELj100EEvPKT0_PKjPS1_: ; @_Z6kernelI23warp_striped_to_blockediLj256ELj1ELj100EEvPKT0_PKjPS1_
; %bb.0:
	s_load_b64 s[4:5], s[0:1], 0x0
	s_bfe_u32 s2, ttmp6, 0x4000c
	s_and_b32 s3, ttmp6, 15
	s_add_co_i32 s2, s2, 1
	s_getreg_b32 s6, hwreg(HW_REG_IB_STS2, 6, 4)
	s_mul_i32 s2, ttmp9, s2
	v_mbcnt_lo_u32_b32 v1, -1, 0
	s_add_co_i32 s3, s3, s2
	s_cmp_eq_u32 s6, 0
	v_mov_b32_e32 v3, 0
	s_cselect_b32 s2, ttmp9, s3
	s_mov_b32 s3, 0
	s_lshl_b32 s2, s2, 8
	v_lshlrev_b32_e32 v2, 2, v1
	s_lshl_b64 s[2:3], s[2:3], 2
	v_and_b32_e32 v1, 0xc0, v0
	s_delay_alu instid0(VALU_DEP_1) | instskip(SKIP_2) | instid1(SALU_CYCLE_1)
	v_dual_mov_b32 v7, v3 :: v_dual_lshlrev_b32 v6, 2, v1
	s_wait_kmcnt 0x0
	s_add_nc_u64 s[4:5], s[4:5], s[2:3]
	v_add_nc_u64_e32 v[4:5], s[4:5], v[2:3]
	s_movk_i32 s4, 0x64
	v_or_b32_e32 v2, v2, v6
	s_delay_alu instid0(VALU_DEP_2)
	v_add_nc_u64_e32 v[4:5], v[4:5], v[6:7]
	global_load_b32 v1, v[4:5], off
.LBB90_1:                               ; =>This Inner Loop Header: Depth=1
	s_wait_loadcnt 0x0
	ds_store_b32 v2, v1
	; wave barrier
	ds_load_b32 v1, v2
	s_add_co_i32 s4, s4, -1
	s_wait_dscnt 0x0
	s_cmp_lg_u32 s4, 0
	s_barrier_signal -1
	s_barrier_wait -1
	s_cbranch_scc1 .LBB90_1
; %bb.2:
	s_load_b64 s[0:1], s[0:1], 0x10
	s_wait_kmcnt 0x0
	s_add_nc_u64 s[0:1], s[0:1], s[2:3]
	global_store_b32 v0, v1, s[0:1] scale_offset
	s_endpgm
	.section	.rodata,"a",@progbits
	.p2align	6, 0x0
	.amdhsa_kernel _Z6kernelI23warp_striped_to_blockediLj256ELj1ELj100EEvPKT0_PKjPS1_
		.amdhsa_group_segment_fixed_size 1024
		.amdhsa_private_segment_fixed_size 0
		.amdhsa_kernarg_size 24
		.amdhsa_user_sgpr_count 2
		.amdhsa_user_sgpr_dispatch_ptr 0
		.amdhsa_user_sgpr_queue_ptr 0
		.amdhsa_user_sgpr_kernarg_segment_ptr 1
		.amdhsa_user_sgpr_dispatch_id 0
		.amdhsa_user_sgpr_kernarg_preload_length 0
		.amdhsa_user_sgpr_kernarg_preload_offset 0
		.amdhsa_user_sgpr_private_segment_size 0
		.amdhsa_wavefront_size32 1
		.amdhsa_uses_dynamic_stack 0
		.amdhsa_enable_private_segment 0
		.amdhsa_system_sgpr_workgroup_id_x 1
		.amdhsa_system_sgpr_workgroup_id_y 0
		.amdhsa_system_sgpr_workgroup_id_z 0
		.amdhsa_system_sgpr_workgroup_info 0
		.amdhsa_system_vgpr_workitem_id 0
		.amdhsa_next_free_vgpr 8
		.amdhsa_next_free_sgpr 7
		.amdhsa_named_barrier_count 0
		.amdhsa_reserve_vcc 0
		.amdhsa_float_round_mode_32 0
		.amdhsa_float_round_mode_16_64 0
		.amdhsa_float_denorm_mode_32 3
		.amdhsa_float_denorm_mode_16_64 3
		.amdhsa_fp16_overflow 0
		.amdhsa_memory_ordered 1
		.amdhsa_forward_progress 1
		.amdhsa_inst_pref_size 2
		.amdhsa_round_robin_scheduling 0
		.amdhsa_exception_fp_ieee_invalid_op 0
		.amdhsa_exception_fp_denorm_src 0
		.amdhsa_exception_fp_ieee_div_zero 0
		.amdhsa_exception_fp_ieee_overflow 0
		.amdhsa_exception_fp_ieee_underflow 0
		.amdhsa_exception_fp_ieee_inexact 0
		.amdhsa_exception_int_div_zero 0
	.end_amdhsa_kernel
	.section	.text._Z6kernelI23warp_striped_to_blockediLj256ELj1ELj100EEvPKT0_PKjPS1_,"axG",@progbits,_Z6kernelI23warp_striped_to_blockediLj256ELj1ELj100EEvPKT0_PKjPS1_,comdat
.Lfunc_end90:
	.size	_Z6kernelI23warp_striped_to_blockediLj256ELj1ELj100EEvPKT0_PKjPS1_, .Lfunc_end90-_Z6kernelI23warp_striped_to_blockediLj256ELj1ELj100EEvPKT0_PKjPS1_
                                        ; -- End function
	.set _Z6kernelI23warp_striped_to_blockediLj256ELj1ELj100EEvPKT0_PKjPS1_.num_vgpr, 8
	.set _Z6kernelI23warp_striped_to_blockediLj256ELj1ELj100EEvPKT0_PKjPS1_.num_agpr, 0
	.set _Z6kernelI23warp_striped_to_blockediLj256ELj1ELj100EEvPKT0_PKjPS1_.numbered_sgpr, 7
	.set _Z6kernelI23warp_striped_to_blockediLj256ELj1ELj100EEvPKT0_PKjPS1_.num_named_barrier, 0
	.set _Z6kernelI23warp_striped_to_blockediLj256ELj1ELj100EEvPKT0_PKjPS1_.private_seg_size, 0
	.set _Z6kernelI23warp_striped_to_blockediLj256ELj1ELj100EEvPKT0_PKjPS1_.uses_vcc, 0
	.set _Z6kernelI23warp_striped_to_blockediLj256ELj1ELj100EEvPKT0_PKjPS1_.uses_flat_scratch, 0
	.set _Z6kernelI23warp_striped_to_blockediLj256ELj1ELj100EEvPKT0_PKjPS1_.has_dyn_sized_stack, 0
	.set _Z6kernelI23warp_striped_to_blockediLj256ELj1ELj100EEvPKT0_PKjPS1_.has_recursion, 0
	.set _Z6kernelI23warp_striped_to_blockediLj256ELj1ELj100EEvPKT0_PKjPS1_.has_indirect_call, 0
	.section	.AMDGPU.csdata,"",@progbits
; Kernel info:
; codeLenInByte = 208
; TotalNumSgprs: 7
; NumVgprs: 8
; ScratchSize: 0
; MemoryBound: 0
; FloatMode: 240
; IeeeMode: 1
; LDSByteSize: 1024 bytes/workgroup (compile time only)
; SGPRBlocks: 0
; VGPRBlocks: 0
; NumSGPRsForWavesPerEU: 7
; NumVGPRsForWavesPerEU: 8
; NamedBarCnt: 0
; Occupancy: 16
; WaveLimiterHint : 0
; COMPUTE_PGM_RSRC2:SCRATCH_EN: 0
; COMPUTE_PGM_RSRC2:USER_SGPR: 2
; COMPUTE_PGM_RSRC2:TRAP_HANDLER: 0
; COMPUTE_PGM_RSRC2:TGID_X_EN: 1
; COMPUTE_PGM_RSRC2:TGID_Y_EN: 0
; COMPUTE_PGM_RSRC2:TGID_Z_EN: 0
; COMPUTE_PGM_RSRC2:TIDIG_COMP_CNT: 0
	.section	.text._Z6kernelI23warp_striped_to_blockediLj256ELj2ELj100EEvPKT0_PKjPS1_,"axG",@progbits,_Z6kernelI23warp_striped_to_blockediLj256ELj2ELj100EEvPKT0_PKjPS1_,comdat
	.protected	_Z6kernelI23warp_striped_to_blockediLj256ELj2ELj100EEvPKT0_PKjPS1_ ; -- Begin function _Z6kernelI23warp_striped_to_blockediLj256ELj2ELj100EEvPKT0_PKjPS1_
	.globl	_Z6kernelI23warp_striped_to_blockediLj256ELj2ELj100EEvPKT0_PKjPS1_
	.p2align	8
	.type	_Z6kernelI23warp_striped_to_blockediLj256ELj2ELj100EEvPKT0_PKjPS1_,@function
_Z6kernelI23warp_striped_to_blockediLj256ELj2ELj100EEvPKT0_PKjPS1_: ; @_Z6kernelI23warp_striped_to_blockediLj256ELj2ELj100EEvPKT0_PKjPS1_
; %bb.0:
	s_load_b64 s[4:5], s[0:1], 0x0
	s_bfe_u32 s6, ttmp6, 0x4000c
	s_and_b32 s2, ttmp6, 15
	s_add_co_i32 s6, s6, 1
	s_getreg_b32 s7, hwreg(HW_REG_IB_STS2, 6, 4)
	s_mul_i32 s6, ttmp9, s6
	v_mbcnt_lo_u32_b32 v6, -1, 0
	s_add_co_i32 s2, s2, s6
	s_cmp_eq_u32 s7, 0
	v_dual_lshlrev_b32 v1, 1, v0 :: v_dual_mov_b32 v3, 0
	s_cselect_b32 s2, ttmp9, s2
	s_mov_b32 s3, 0
	s_lshl_b32 s2, s2, 9
	s_delay_alu instid0(VALU_DEP_1)
	v_and_b32_e32 v7, 0x180, v1
	v_lshlrev_b32_e32 v2, 2, v6
	s_lshl_b64 s[2:3], s[2:3], 2
	s_wait_kmcnt 0x0
	s_add_nc_u64 s[4:5], s[4:5], s[2:3]
	s_delay_alu instid0(VALU_DEP_1) | instid1(SALU_CYCLE_1)
	v_add_nc_u64_e32 v[4:5], s[4:5], v[2:3]
	v_lshlrev_b32_e32 v2, 2, v7
	s_movk_i32 s4, 0x64
	s_delay_alu instid0(VALU_DEP_1)
	v_add_nc_u64_e32 v[4:5], v[4:5], v[2:3]
	s_clause 0x1
	global_load_b32 v2, v[4:5], off
	global_load_b32 v3, v[4:5], off offset:256
	s_wait_xcnt 0x0
	v_and_or_b32 v5, 0xc0, v0, v6
	v_or_b32_e32 v0, v6, v7
	v_dual_lshrrev_b32 v7, 3, v7 :: v_dual_bitop2_b32 v4, 64, v7 bitop3:0x54
	s_delay_alu instid0(VALU_DEP_2) | instskip(NEXT) | instid1(VALU_DEP_1)
	v_dual_lshrrev_b32 v6, 2, v5 :: v_dual_lshlrev_b32 v8, 2, v0
	v_dual_lshrrev_b32 v4, 3, v4 :: v_dual_bitop2_b32 v6, 52, v6 bitop3:0x40
	s_delay_alu instid0(VALU_DEP_1) | instskip(NEXT) | instid1(VALU_DEP_2)
	v_dual_add_nc_u32 v0, v7, v8 :: v_dual_add_nc_u32 v4, v4, v8
	v_lshl_add_u32 v5, v5, 3, v6
.LBB91_1:                               ; =>This Inner Loop Header: Depth=1
	s_wait_loadcnt 0x1
	ds_store_b32 v0, v2
	s_wait_loadcnt 0x0
	ds_store_b32 v4, v3 offset:256
	; wave barrier
	ds_load_2addr_b32 v[2:3], v5 offset1:1
	s_add_co_i32 s4, s4, -1
	s_wait_dscnt 0x0
	s_cmp_lg_u32 s4, 0
	s_barrier_signal -1
	s_barrier_wait -1
	s_cbranch_scc1 .LBB91_1
; %bb.2:
	s_load_b64 s[0:1], s[0:1], 0x10
	v_lshlrev_b32_e32 v0, 2, v1
	s_wait_kmcnt 0x0
	s_add_nc_u64 s[0:1], s[0:1], s[2:3]
	global_store_b64 v0, v[2:3], s[0:1]
	s_endpgm
	.section	.rodata,"a",@progbits
	.p2align	6, 0x0
	.amdhsa_kernel _Z6kernelI23warp_striped_to_blockediLj256ELj2ELj100EEvPKT0_PKjPS1_
		.amdhsa_group_segment_fixed_size 2112
		.amdhsa_private_segment_fixed_size 0
		.amdhsa_kernarg_size 24
		.amdhsa_user_sgpr_count 2
		.amdhsa_user_sgpr_dispatch_ptr 0
		.amdhsa_user_sgpr_queue_ptr 0
		.amdhsa_user_sgpr_kernarg_segment_ptr 1
		.amdhsa_user_sgpr_dispatch_id 0
		.amdhsa_user_sgpr_kernarg_preload_length 0
		.amdhsa_user_sgpr_kernarg_preload_offset 0
		.amdhsa_user_sgpr_private_segment_size 0
		.amdhsa_wavefront_size32 1
		.amdhsa_uses_dynamic_stack 0
		.amdhsa_enable_private_segment 0
		.amdhsa_system_sgpr_workgroup_id_x 1
		.amdhsa_system_sgpr_workgroup_id_y 0
		.amdhsa_system_sgpr_workgroup_id_z 0
		.amdhsa_system_sgpr_workgroup_info 0
		.amdhsa_system_vgpr_workitem_id 0
		.amdhsa_next_free_vgpr 9
		.amdhsa_next_free_sgpr 8
		.amdhsa_named_barrier_count 0
		.amdhsa_reserve_vcc 0
		.amdhsa_float_round_mode_32 0
		.amdhsa_float_round_mode_16_64 0
		.amdhsa_float_denorm_mode_32 3
		.amdhsa_float_denorm_mode_16_64 3
		.amdhsa_fp16_overflow 0
		.amdhsa_memory_ordered 1
		.amdhsa_forward_progress 1
		.amdhsa_inst_pref_size 3
		.amdhsa_round_robin_scheduling 0
		.amdhsa_exception_fp_ieee_invalid_op 0
		.amdhsa_exception_fp_denorm_src 0
		.amdhsa_exception_fp_ieee_div_zero 0
		.amdhsa_exception_fp_ieee_overflow 0
		.amdhsa_exception_fp_ieee_underflow 0
		.amdhsa_exception_fp_ieee_inexact 0
		.amdhsa_exception_int_div_zero 0
	.end_amdhsa_kernel
	.section	.text._Z6kernelI23warp_striped_to_blockediLj256ELj2ELj100EEvPKT0_PKjPS1_,"axG",@progbits,_Z6kernelI23warp_striped_to_blockediLj256ELj2ELj100EEvPKT0_PKjPS1_,comdat
.Lfunc_end91:
	.size	_Z6kernelI23warp_striped_to_blockediLj256ELj2ELj100EEvPKT0_PKjPS1_, .Lfunc_end91-_Z6kernelI23warp_striped_to_blockediLj256ELj2ELj100EEvPKT0_PKjPS1_
                                        ; -- End function
	.set _Z6kernelI23warp_striped_to_blockediLj256ELj2ELj100EEvPKT0_PKjPS1_.num_vgpr, 9
	.set _Z6kernelI23warp_striped_to_blockediLj256ELj2ELj100EEvPKT0_PKjPS1_.num_agpr, 0
	.set _Z6kernelI23warp_striped_to_blockediLj256ELj2ELj100EEvPKT0_PKjPS1_.numbered_sgpr, 8
	.set _Z6kernelI23warp_striped_to_blockediLj256ELj2ELj100EEvPKT0_PKjPS1_.num_named_barrier, 0
	.set _Z6kernelI23warp_striped_to_blockediLj256ELj2ELj100EEvPKT0_PKjPS1_.private_seg_size, 0
	.set _Z6kernelI23warp_striped_to_blockediLj256ELj2ELj100EEvPKT0_PKjPS1_.uses_vcc, 0
	.set _Z6kernelI23warp_striped_to_blockediLj256ELj2ELj100EEvPKT0_PKjPS1_.uses_flat_scratch, 0
	.set _Z6kernelI23warp_striped_to_blockediLj256ELj2ELj100EEvPKT0_PKjPS1_.has_dyn_sized_stack, 0
	.set _Z6kernelI23warp_striped_to_blockediLj256ELj2ELj100EEvPKT0_PKjPS1_.has_recursion, 0
	.set _Z6kernelI23warp_striped_to_blockediLj256ELj2ELj100EEvPKT0_PKjPS1_.has_indirect_call, 0
	.section	.AMDGPU.csdata,"",@progbits
; Kernel info:
; codeLenInByte = 328
; TotalNumSgprs: 8
; NumVgprs: 9
; ScratchSize: 0
; MemoryBound: 0
; FloatMode: 240
; IeeeMode: 1
; LDSByteSize: 2112 bytes/workgroup (compile time only)
; SGPRBlocks: 0
; VGPRBlocks: 0
; NumSGPRsForWavesPerEU: 8
; NumVGPRsForWavesPerEU: 9
; NamedBarCnt: 0
; Occupancy: 16
; WaveLimiterHint : 1
; COMPUTE_PGM_RSRC2:SCRATCH_EN: 0
; COMPUTE_PGM_RSRC2:USER_SGPR: 2
; COMPUTE_PGM_RSRC2:TRAP_HANDLER: 0
; COMPUTE_PGM_RSRC2:TGID_X_EN: 1
; COMPUTE_PGM_RSRC2:TGID_Y_EN: 0
; COMPUTE_PGM_RSRC2:TGID_Z_EN: 0
; COMPUTE_PGM_RSRC2:TIDIG_COMP_CNT: 0
	.section	.text._Z6kernelI23warp_striped_to_blockediLj256ELj3ELj100EEvPKT0_PKjPS1_,"axG",@progbits,_Z6kernelI23warp_striped_to_blockediLj256ELj3ELj100EEvPKT0_PKjPS1_,comdat
	.protected	_Z6kernelI23warp_striped_to_blockediLj256ELj3ELj100EEvPKT0_PKjPS1_ ; -- Begin function _Z6kernelI23warp_striped_to_blockediLj256ELj3ELj100EEvPKT0_PKjPS1_
	.globl	_Z6kernelI23warp_striped_to_blockediLj256ELj3ELj100EEvPKT0_PKjPS1_
	.p2align	8
	.type	_Z6kernelI23warp_striped_to_blockediLj256ELj3ELj100EEvPKT0_PKjPS1_,@function
_Z6kernelI23warp_striped_to_blockediLj256ELj3ELj100EEvPKT0_PKjPS1_: ; @_Z6kernelI23warp_striped_to_blockediLj256ELj3ELj100EEvPKT0_PKjPS1_
; %bb.0:
	s_load_b64 s[4:5], s[0:1], 0x0
	s_bfe_u32 s6, ttmp6, 0x4000c
	s_and_b32 s2, ttmp6, 15
	s_add_co_i32 s6, s6, 1
	s_getreg_b32 s7, hwreg(HW_REG_IB_STS2, 6, 4)
	s_mul_i32 s6, ttmp9, s6
	v_mbcnt_lo_u32_b32 v10, -1, 0
	s_add_co_i32 s2, s2, s6
	s_cmp_eq_u32 s7, 0
	v_and_b32_e32 v1, 0xc0, v0
	s_cselect_b32 s2, ttmp9, s2
	s_mov_b32 s3, 0
	s_mulk_i32 s2, 0x300
	v_dual_mov_b32 v7, 0 :: v_dual_lshlrev_b32 v6, 2, v10
	s_lshl_b64 s[2:3], s[2:3], 2
	v_mul_u32_u24_e32 v1, 3, v1
	s_delay_alu instid0(VALU_DEP_2) | instskip(SKIP_2) | instid1(VALU_DEP_2)
	v_mov_b32_e32 v5, v7
	s_wait_kmcnt 0x0
	s_add_nc_u64 s[4:5], s[4:5], s[2:3]
	v_lshlrev_b32_e32 v4, 2, v1
	v_add_nc_u64_e32 v[2:3], s[4:5], v[6:7]
	v_lshrrev_b32_e32 v1, 6, v0
	s_movk_i32 s4, 0x64
	s_delay_alu instid0(VALU_DEP_1) | instskip(NEXT) | instid1(VALU_DEP_3)
	v_mul_u32_u24_e32 v1, 0xc0, v1
	v_add_nc_u64_e32 v[8:9], v[2:3], v[4:5]
	s_clause 0x2
	global_load_b32 v2, v[8:9], off
	global_load_b32 v3, v[8:9], off offset:256
	global_load_b32 v4, v[8:9], off offset:512
	v_lshlrev_b32_e32 v5, 2, v1
	s_delay_alu instid0(VALU_DEP_1)
	v_or_b32_e32 v1, v6, v5
	v_mad_u32_u24 v5, v10, 12, v5
.LBB92_1:                               ; =>This Inner Loop Header: Depth=1
	s_wait_loadcnt 0x1
	ds_store_2addr_stride64_b32 v1, v2, v3 offset1:1
	s_wait_loadcnt 0x0
	ds_store_b32 v1, v4 offset:512
	; wave barrier
	ds_load_2addr_b32 v[2:3], v5 offset1:1
	ds_load_b32 v4, v5 offset:8
	s_add_co_i32 s4, s4, -1
	s_wait_dscnt 0x0
	s_cmp_lg_u32 s4, 0
	s_barrier_signal -1
	s_barrier_wait -1
	s_cbranch_scc1 .LBB92_1
; %bb.2:
	s_load_b64 s[0:1], s[0:1], 0x10
	v_mul_u32_u24_e32 v0, 3, v0
	s_delay_alu instid0(VALU_DEP_1)
	v_lshlrev_b32_e32 v0, 2, v0
	s_wait_kmcnt 0x0
	s_add_nc_u64 s[0:1], s[0:1], s[2:3]
	global_store_b96 v0, v[2:4], s[0:1]
	s_endpgm
	.section	.rodata,"a",@progbits
	.p2align	6, 0x0
	.amdhsa_kernel _Z6kernelI23warp_striped_to_blockediLj256ELj3ELj100EEvPKT0_PKjPS1_
		.amdhsa_group_segment_fixed_size 3072
		.amdhsa_private_segment_fixed_size 0
		.amdhsa_kernarg_size 24
		.amdhsa_user_sgpr_count 2
		.amdhsa_user_sgpr_dispatch_ptr 0
		.amdhsa_user_sgpr_queue_ptr 0
		.amdhsa_user_sgpr_kernarg_segment_ptr 1
		.amdhsa_user_sgpr_dispatch_id 0
		.amdhsa_user_sgpr_kernarg_preload_length 0
		.amdhsa_user_sgpr_kernarg_preload_offset 0
		.amdhsa_user_sgpr_private_segment_size 0
		.amdhsa_wavefront_size32 1
		.amdhsa_uses_dynamic_stack 0
		.amdhsa_enable_private_segment 0
		.amdhsa_system_sgpr_workgroup_id_x 1
		.amdhsa_system_sgpr_workgroup_id_y 0
		.amdhsa_system_sgpr_workgroup_id_z 0
		.amdhsa_system_sgpr_workgroup_info 0
		.amdhsa_system_vgpr_workitem_id 0
		.amdhsa_next_free_vgpr 11
		.amdhsa_next_free_sgpr 8
		.amdhsa_named_barrier_count 0
		.amdhsa_reserve_vcc 0
		.amdhsa_float_round_mode_32 0
		.amdhsa_float_round_mode_16_64 0
		.amdhsa_float_denorm_mode_32 3
		.amdhsa_float_denorm_mode_16_64 3
		.amdhsa_fp16_overflow 0
		.amdhsa_memory_ordered 1
		.amdhsa_forward_progress 1
		.amdhsa_inst_pref_size 3
		.amdhsa_round_robin_scheduling 0
		.amdhsa_exception_fp_ieee_invalid_op 0
		.amdhsa_exception_fp_denorm_src 0
		.amdhsa_exception_fp_ieee_div_zero 0
		.amdhsa_exception_fp_ieee_overflow 0
		.amdhsa_exception_fp_ieee_underflow 0
		.amdhsa_exception_fp_ieee_inexact 0
		.amdhsa_exception_int_div_zero 0
	.end_amdhsa_kernel
	.section	.text._Z6kernelI23warp_striped_to_blockediLj256ELj3ELj100EEvPKT0_PKjPS1_,"axG",@progbits,_Z6kernelI23warp_striped_to_blockediLj256ELj3ELj100EEvPKT0_PKjPS1_,comdat
.Lfunc_end92:
	.size	_Z6kernelI23warp_striped_to_blockediLj256ELj3ELj100EEvPKT0_PKjPS1_, .Lfunc_end92-_Z6kernelI23warp_striped_to_blockediLj256ELj3ELj100EEvPKT0_PKjPS1_
                                        ; -- End function
	.set _Z6kernelI23warp_striped_to_blockediLj256ELj3ELj100EEvPKT0_PKjPS1_.num_vgpr, 11
	.set _Z6kernelI23warp_striped_to_blockediLj256ELj3ELj100EEvPKT0_PKjPS1_.num_agpr, 0
	.set _Z6kernelI23warp_striped_to_blockediLj256ELj3ELj100EEvPKT0_PKjPS1_.numbered_sgpr, 8
	.set _Z6kernelI23warp_striped_to_blockediLj256ELj3ELj100EEvPKT0_PKjPS1_.num_named_barrier, 0
	.set _Z6kernelI23warp_striped_to_blockediLj256ELj3ELj100EEvPKT0_PKjPS1_.private_seg_size, 0
	.set _Z6kernelI23warp_striped_to_blockediLj256ELj3ELj100EEvPKT0_PKjPS1_.uses_vcc, 0
	.set _Z6kernelI23warp_striped_to_blockediLj256ELj3ELj100EEvPKT0_PKjPS1_.uses_flat_scratch, 0
	.set _Z6kernelI23warp_striped_to_blockediLj256ELj3ELj100EEvPKT0_PKjPS1_.has_dyn_sized_stack, 0
	.set _Z6kernelI23warp_striped_to_blockediLj256ELj3ELj100EEvPKT0_PKjPS1_.has_recursion, 0
	.set _Z6kernelI23warp_striped_to_blockediLj256ELj3ELj100EEvPKT0_PKjPS1_.has_indirect_call, 0
	.section	.AMDGPU.csdata,"",@progbits
; Kernel info:
; codeLenInByte = 300
; TotalNumSgprs: 8
; NumVgprs: 11
; ScratchSize: 0
; MemoryBound: 0
; FloatMode: 240
; IeeeMode: 1
; LDSByteSize: 3072 bytes/workgroup (compile time only)
; SGPRBlocks: 0
; VGPRBlocks: 0
; NumSGPRsForWavesPerEU: 8
; NumVGPRsForWavesPerEU: 11
; NamedBarCnt: 0
; Occupancy: 16
; WaveLimiterHint : 1
; COMPUTE_PGM_RSRC2:SCRATCH_EN: 0
; COMPUTE_PGM_RSRC2:USER_SGPR: 2
; COMPUTE_PGM_RSRC2:TRAP_HANDLER: 0
; COMPUTE_PGM_RSRC2:TGID_X_EN: 1
; COMPUTE_PGM_RSRC2:TGID_Y_EN: 0
; COMPUTE_PGM_RSRC2:TGID_Z_EN: 0
; COMPUTE_PGM_RSRC2:TIDIG_COMP_CNT: 0
	.section	.text._Z6kernelI23warp_striped_to_blockediLj256ELj4ELj100EEvPKT0_PKjPS1_,"axG",@progbits,_Z6kernelI23warp_striped_to_blockediLj256ELj4ELj100EEvPKT0_PKjPS1_,comdat
	.protected	_Z6kernelI23warp_striped_to_blockediLj256ELj4ELj100EEvPKT0_PKjPS1_ ; -- Begin function _Z6kernelI23warp_striped_to_blockediLj256ELj4ELj100EEvPKT0_PKjPS1_
	.globl	_Z6kernelI23warp_striped_to_blockediLj256ELj4ELj100EEvPKT0_PKjPS1_
	.p2align	8
	.type	_Z6kernelI23warp_striped_to_blockediLj256ELj4ELj100EEvPKT0_PKjPS1_,@function
_Z6kernelI23warp_striped_to_blockediLj256ELj4ELj100EEvPKT0_PKjPS1_: ; @_Z6kernelI23warp_striped_to_blockediLj256ELj4ELj100EEvPKT0_PKjPS1_
; %bb.0:
	s_load_b64 s[4:5], s[0:1], 0x0
	s_bfe_u32 s6, ttmp6, 0x4000c
	s_and_b32 s2, ttmp6, 15
	s_add_co_i32 s6, s6, 1
	s_getreg_b32 s7, hwreg(HW_REG_IB_STS2, 6, 4)
	s_mul_i32 s6, ttmp9, s6
	v_mbcnt_lo_u32_b32 v8, -1, 0
	s_add_co_i32 s2, s2, s6
	s_cmp_eq_u32 s7, 0
	v_dual_lshlrev_b32 v1, 2, v0 :: v_dual_mov_b32 v3, 0
	s_cselect_b32 s2, ttmp9, s2
	s_mov_b32 s3, 0
	s_lshl_b32 s2, s2, 10
	s_delay_alu instid0(VALU_DEP_1) | instskip(SKIP_3) | instid1(VALU_DEP_3)
	v_and_b32_e32 v9, 0x300, v1
	v_lshlrev_b32_e32 v2, 2, v8
	s_lshl_b64 s[2:3], s[2:3], 2
	v_and_or_b32 v10, 0xc0, v0, v8
	v_lshrrev_b32_e32 v0, 3, v9
	s_wait_kmcnt 0x0
	s_add_nc_u64 s[4:5], s[4:5], s[2:3]
	s_delay_alu instid0(SALU_CYCLE_1) | instskip(SKIP_3) | instid1(VALU_DEP_2)
	v_add_nc_u64_e32 v[4:5], s[4:5], v[2:3]
	v_lshlrev_b32_e32 v2, 2, v9
	v_lshrrev_b16 v11, 1, v10
	s_movk_i32 s4, 0x64
	v_add_nc_u64_e32 v[6:7], v[4:5], v[2:3]
	s_clause 0x3
	global_load_b32 v2, v[6:7], off
	global_load_b32 v3, v[6:7], off offset:256
	global_load_b32 v4, v[6:7], off offset:512
	global_load_b32 v5, v[6:7], off offset:768
	s_wait_xcnt 0x0
	v_or_b32_e32 v6, v8, v9
	v_or_b32_e32 v7, 64, v9
	;; [unrolled: 1-line block ×4, first 2 shown]
	s_delay_alu instid0(VALU_DEP_3) | instskip(NEXT) | instid1(VALU_DEP_2)
	v_dual_lshlrev_b32 v12, 2, v6 :: v_dual_lshrrev_b32 v6, 3, v7
	v_dual_lshrrev_b32 v7, 3, v8 :: v_dual_lshrrev_b32 v8, 3, v9
	v_and_b32_e32 v9, 0x6c, v11
	s_delay_alu instid0(VALU_DEP_3) | instskip(NEXT) | instid1(VALU_DEP_3)
	v_dual_add_nc_u32 v0, v0, v12 :: v_dual_add_nc_u32 v6, v6, v12
	v_dual_add_nc_u32 v7, v7, v12 :: v_dual_add_nc_u32 v8, v8, v12
	s_delay_alu instid0(VALU_DEP_3)
	v_lshl_add_u32 v9, v10, 4, v9
.LBB93_1:                               ; =>This Inner Loop Header: Depth=1
	s_wait_loadcnt 0x3
	ds_store_b32 v0, v2
	s_wait_loadcnt 0x2
	ds_store_b32 v6, v3 offset:256
	s_wait_loadcnt 0x1
	ds_store_b32 v7, v4 offset:512
	;; [unrolled: 2-line block ×3, first 2 shown]
	; wave barrier
	ds_load_2addr_b32 v[2:3], v9 offset1:1
	ds_load_2addr_b32 v[4:5], v9 offset0:2 offset1:3
	s_add_co_i32 s4, s4, -1
	s_wait_dscnt 0x0
	s_cmp_lg_u32 s4, 0
	s_barrier_signal -1
	s_barrier_wait -1
	s_cbranch_scc1 .LBB93_1
; %bb.2:
	s_load_b64 s[0:1], s[0:1], 0x10
	v_lshlrev_b32_e32 v0, 2, v1
	s_wait_kmcnt 0x0
	s_add_nc_u64 s[0:1], s[0:1], s[2:3]
	global_store_b128 v0, v[2:5], s[0:1]
	s_endpgm
	.section	.rodata,"a",@progbits
	.p2align	6, 0x0
	.amdhsa_kernel _Z6kernelI23warp_striped_to_blockediLj256ELj4ELj100EEvPKT0_PKjPS1_
		.amdhsa_group_segment_fixed_size 4224
		.amdhsa_private_segment_fixed_size 0
		.amdhsa_kernarg_size 24
		.amdhsa_user_sgpr_count 2
		.amdhsa_user_sgpr_dispatch_ptr 0
		.amdhsa_user_sgpr_queue_ptr 0
		.amdhsa_user_sgpr_kernarg_segment_ptr 1
		.amdhsa_user_sgpr_dispatch_id 0
		.amdhsa_user_sgpr_kernarg_preload_length 0
		.amdhsa_user_sgpr_kernarg_preload_offset 0
		.amdhsa_user_sgpr_private_segment_size 0
		.amdhsa_wavefront_size32 1
		.amdhsa_uses_dynamic_stack 0
		.amdhsa_enable_private_segment 0
		.amdhsa_system_sgpr_workgroup_id_x 1
		.amdhsa_system_sgpr_workgroup_id_y 0
		.amdhsa_system_sgpr_workgroup_id_z 0
		.amdhsa_system_sgpr_workgroup_info 0
		.amdhsa_system_vgpr_workitem_id 0
		.amdhsa_next_free_vgpr 13
		.amdhsa_next_free_sgpr 8
		.amdhsa_named_barrier_count 0
		.amdhsa_reserve_vcc 0
		.amdhsa_float_round_mode_32 0
		.amdhsa_float_round_mode_16_64 0
		.amdhsa_float_denorm_mode_32 3
		.amdhsa_float_denorm_mode_16_64 3
		.amdhsa_fp16_overflow 0
		.amdhsa_memory_ordered 1
		.amdhsa_forward_progress 1
		.amdhsa_inst_pref_size 4
		.amdhsa_round_robin_scheduling 0
		.amdhsa_exception_fp_ieee_invalid_op 0
		.amdhsa_exception_fp_denorm_src 0
		.amdhsa_exception_fp_ieee_div_zero 0
		.amdhsa_exception_fp_ieee_overflow 0
		.amdhsa_exception_fp_ieee_underflow 0
		.amdhsa_exception_fp_ieee_inexact 0
		.amdhsa_exception_int_div_zero 0
	.end_amdhsa_kernel
	.section	.text._Z6kernelI23warp_striped_to_blockediLj256ELj4ELj100EEvPKT0_PKjPS1_,"axG",@progbits,_Z6kernelI23warp_striped_to_blockediLj256ELj4ELj100EEvPKT0_PKjPS1_,comdat
.Lfunc_end93:
	.size	_Z6kernelI23warp_striped_to_blockediLj256ELj4ELj100EEvPKT0_PKjPS1_, .Lfunc_end93-_Z6kernelI23warp_striped_to_blockediLj256ELj4ELj100EEvPKT0_PKjPS1_
                                        ; -- End function
	.set _Z6kernelI23warp_striped_to_blockediLj256ELj4ELj100EEvPKT0_PKjPS1_.num_vgpr, 13
	.set _Z6kernelI23warp_striped_to_blockediLj256ELj4ELj100EEvPKT0_PKjPS1_.num_agpr, 0
	.set _Z6kernelI23warp_striped_to_blockediLj256ELj4ELj100EEvPKT0_PKjPS1_.numbered_sgpr, 8
	.set _Z6kernelI23warp_striped_to_blockediLj256ELj4ELj100EEvPKT0_PKjPS1_.num_named_barrier, 0
	.set _Z6kernelI23warp_striped_to_blockediLj256ELj4ELj100EEvPKT0_PKjPS1_.private_seg_size, 0
	.set _Z6kernelI23warp_striped_to_blockediLj256ELj4ELj100EEvPKT0_PKjPS1_.uses_vcc, 0
	.set _Z6kernelI23warp_striped_to_blockediLj256ELj4ELj100EEvPKT0_PKjPS1_.uses_flat_scratch, 0
	.set _Z6kernelI23warp_striped_to_blockediLj256ELj4ELj100EEvPKT0_PKjPS1_.has_dyn_sized_stack, 0
	.set _Z6kernelI23warp_striped_to_blockediLj256ELj4ELj100EEvPKT0_PKjPS1_.has_recursion, 0
	.set _Z6kernelI23warp_striped_to_blockediLj256ELj4ELj100EEvPKT0_PKjPS1_.has_indirect_call, 0
	.section	.AMDGPU.csdata,"",@progbits
; Kernel info:
; codeLenInByte = 424
; TotalNumSgprs: 8
; NumVgprs: 13
; ScratchSize: 0
; MemoryBound: 0
; FloatMode: 240
; IeeeMode: 1
; LDSByteSize: 4224 bytes/workgroup (compile time only)
; SGPRBlocks: 0
; VGPRBlocks: 0
; NumSGPRsForWavesPerEU: 8
; NumVGPRsForWavesPerEU: 13
; NamedBarCnt: 0
; Occupancy: 16
; WaveLimiterHint : 1
; COMPUTE_PGM_RSRC2:SCRATCH_EN: 0
; COMPUTE_PGM_RSRC2:USER_SGPR: 2
; COMPUTE_PGM_RSRC2:TRAP_HANDLER: 0
; COMPUTE_PGM_RSRC2:TGID_X_EN: 1
; COMPUTE_PGM_RSRC2:TGID_Y_EN: 0
; COMPUTE_PGM_RSRC2:TGID_Z_EN: 0
; COMPUTE_PGM_RSRC2:TIDIG_COMP_CNT: 0
	.section	.text._Z6kernelI23warp_striped_to_blockediLj256ELj7ELj100EEvPKT0_PKjPS1_,"axG",@progbits,_Z6kernelI23warp_striped_to_blockediLj256ELj7ELj100EEvPKT0_PKjPS1_,comdat
	.protected	_Z6kernelI23warp_striped_to_blockediLj256ELj7ELj100EEvPKT0_PKjPS1_ ; -- Begin function _Z6kernelI23warp_striped_to_blockediLj256ELj7ELj100EEvPKT0_PKjPS1_
	.globl	_Z6kernelI23warp_striped_to_blockediLj256ELj7ELj100EEvPKT0_PKjPS1_
	.p2align	8
	.type	_Z6kernelI23warp_striped_to_blockediLj256ELj7ELj100EEvPKT0_PKjPS1_,@function
_Z6kernelI23warp_striped_to_blockediLj256ELj7ELj100EEvPKT0_PKjPS1_: ; @_Z6kernelI23warp_striped_to_blockediLj256ELj7ELj100EEvPKT0_PKjPS1_
; %bb.0:
	s_load_b64 s[4:5], s[0:1], 0x0
	s_bfe_u32 s6, ttmp6, 0x4000c
	s_and_b32 s2, ttmp6, 15
	s_add_co_i32 s6, s6, 1
	s_getreg_b32 s7, hwreg(HW_REG_IB_STS2, 6, 4)
	s_mul_i32 s6, ttmp9, s6
	v_mbcnt_lo_u32_b32 v9, -1, 0
	s_add_co_i32 s2, s2, s6
	s_cmp_eq_u32 s7, 0
	v_and_b32_e32 v1, 0xc0, v0
	s_cselect_b32 s2, ttmp9, s2
	s_mov_b32 s3, 0
	s_mulk_i32 s2, 0x700
	v_dual_mov_b32 v11, 0 :: v_dual_lshlrev_b32 v10, 2, v9
	s_lshl_b64 s[2:3], s[2:3], 2
	v_mul_u32_u24_e32 v1, 7, v1
	s_delay_alu instid0(VALU_DEP_2) | instskip(SKIP_2) | instid1(VALU_DEP_2)
	v_mov_b32_e32 v5, v11
	s_wait_kmcnt 0x0
	s_add_nc_u64 s[4:5], s[4:5], s[2:3]
	v_lshlrev_b32_e32 v4, 2, v1
	v_add_nc_u64_e32 v[2:3], s[4:5], v[10:11]
	v_lshrrev_b32_e32 v1, 6, v0
	s_movk_i32 s4, 0x64
	s_delay_alu instid0(VALU_DEP_1) | instskip(NEXT) | instid1(VALU_DEP_3)
	v_mul_u32_u24_e32 v1, 0x1c0, v1
	v_add_nc_u64_e32 v[12:13], v[2:3], v[4:5]
	s_clause 0x6
	global_load_b32 v2, v[12:13], off
	global_load_b32 v3, v[12:13], off offset:256
	global_load_b32 v4, v[12:13], off offset:512
	;; [unrolled: 1-line block ×6, first 2 shown]
	v_lshlrev_b32_e32 v11, 2, v1
	s_delay_alu instid0(VALU_DEP_1)
	v_or_b32_e32 v1, v10, v11
	v_mad_u32_u24 v9, v9, 28, v11
.LBB94_1:                               ; =>This Inner Loop Header: Depth=1
	s_wait_loadcnt 0x5
	ds_store_2addr_stride64_b32 v1, v2, v3 offset1:1
	s_wait_loadcnt 0x3
	ds_store_2addr_stride64_b32 v1, v4, v5 offset0:2 offset1:3
	s_wait_loadcnt 0x1
	ds_store_2addr_stride64_b32 v1, v6, v7 offset0:4 offset1:5
	s_wait_loadcnt 0x0
	ds_store_b32 v1, v8 offset:1536
	; wave barrier
	ds_load_2addr_b32 v[2:3], v9 offset1:1
	ds_load_2addr_b32 v[4:5], v9 offset0:2 offset1:3
	ds_load_2addr_b32 v[6:7], v9 offset0:4 offset1:5
	ds_load_b32 v8, v9 offset:24
	s_add_co_i32 s4, s4, -1
	s_wait_dscnt 0x0
	s_cmp_lg_u32 s4, 0
	s_barrier_signal -1
	s_barrier_wait -1
	s_cbranch_scc1 .LBB94_1
; %bb.2:
	s_load_b64 s[0:1], s[0:1], 0x10
	v_mul_u32_u24_e32 v0, 7, v0
	s_delay_alu instid0(VALU_DEP_1)
	v_lshlrev_b32_e32 v0, 2, v0
	s_wait_kmcnt 0x0
	s_add_nc_u64 s[0:1], s[0:1], s[2:3]
	s_clause 0x1
	global_store_b128 v0, v[2:5], s[0:1]
	global_store_b96 v0, v[6:8], s[0:1] offset:16
	s_endpgm
	.section	.rodata,"a",@progbits
	.p2align	6, 0x0
	.amdhsa_kernel _Z6kernelI23warp_striped_to_blockediLj256ELj7ELj100EEvPKT0_PKjPS1_
		.amdhsa_group_segment_fixed_size 7168
		.amdhsa_private_segment_fixed_size 0
		.amdhsa_kernarg_size 24
		.amdhsa_user_sgpr_count 2
		.amdhsa_user_sgpr_dispatch_ptr 0
		.amdhsa_user_sgpr_queue_ptr 0
		.amdhsa_user_sgpr_kernarg_segment_ptr 1
		.amdhsa_user_sgpr_dispatch_id 0
		.amdhsa_user_sgpr_kernarg_preload_length 0
		.amdhsa_user_sgpr_kernarg_preload_offset 0
		.amdhsa_user_sgpr_private_segment_size 0
		.amdhsa_wavefront_size32 1
		.amdhsa_uses_dynamic_stack 0
		.amdhsa_enable_private_segment 0
		.amdhsa_system_sgpr_workgroup_id_x 1
		.amdhsa_system_sgpr_workgroup_id_y 0
		.amdhsa_system_sgpr_workgroup_id_z 0
		.amdhsa_system_sgpr_workgroup_info 0
		.amdhsa_system_vgpr_workitem_id 0
		.amdhsa_next_free_vgpr 14
		.amdhsa_next_free_sgpr 8
		.amdhsa_named_barrier_count 0
		.amdhsa_reserve_vcc 0
		.amdhsa_float_round_mode_32 0
		.amdhsa_float_round_mode_16_64 0
		.amdhsa_float_denorm_mode_32 3
		.amdhsa_float_denorm_mode_16_64 3
		.amdhsa_fp16_overflow 0
		.amdhsa_memory_ordered 1
		.amdhsa_forward_progress 1
		.amdhsa_inst_pref_size 4
		.amdhsa_round_robin_scheduling 0
		.amdhsa_exception_fp_ieee_invalid_op 0
		.amdhsa_exception_fp_denorm_src 0
		.amdhsa_exception_fp_ieee_div_zero 0
		.amdhsa_exception_fp_ieee_overflow 0
		.amdhsa_exception_fp_ieee_underflow 0
		.amdhsa_exception_fp_ieee_inexact 0
		.amdhsa_exception_int_div_zero 0
	.end_amdhsa_kernel
	.section	.text._Z6kernelI23warp_striped_to_blockediLj256ELj7ELj100EEvPKT0_PKjPS1_,"axG",@progbits,_Z6kernelI23warp_striped_to_blockediLj256ELj7ELj100EEvPKT0_PKjPS1_,comdat
.Lfunc_end94:
	.size	_Z6kernelI23warp_striped_to_blockediLj256ELj7ELj100EEvPKT0_PKjPS1_, .Lfunc_end94-_Z6kernelI23warp_striped_to_blockediLj256ELj7ELj100EEvPKT0_PKjPS1_
                                        ; -- End function
	.set _Z6kernelI23warp_striped_to_blockediLj256ELj7ELj100EEvPKT0_PKjPS1_.num_vgpr, 14
	.set _Z6kernelI23warp_striped_to_blockediLj256ELj7ELj100EEvPKT0_PKjPS1_.num_agpr, 0
	.set _Z6kernelI23warp_striped_to_blockediLj256ELj7ELj100EEvPKT0_PKjPS1_.numbered_sgpr, 8
	.set _Z6kernelI23warp_striped_to_blockediLj256ELj7ELj100EEvPKT0_PKjPS1_.num_named_barrier, 0
	.set _Z6kernelI23warp_striped_to_blockediLj256ELj7ELj100EEvPKT0_PKjPS1_.private_seg_size, 0
	.set _Z6kernelI23warp_striped_to_blockediLj256ELj7ELj100EEvPKT0_PKjPS1_.uses_vcc, 0
	.set _Z6kernelI23warp_striped_to_blockediLj256ELj7ELj100EEvPKT0_PKjPS1_.uses_flat_scratch, 0
	.set _Z6kernelI23warp_striped_to_blockediLj256ELj7ELj100EEvPKT0_PKjPS1_.has_dyn_sized_stack, 0
	.set _Z6kernelI23warp_striped_to_blockediLj256ELj7ELj100EEvPKT0_PKjPS1_.has_recursion, 0
	.set _Z6kernelI23warp_striped_to_blockediLj256ELj7ELj100EEvPKT0_PKjPS1_.has_indirect_call, 0
	.section	.AMDGPU.csdata,"",@progbits
; Kernel info:
; codeLenInByte = 404
; TotalNumSgprs: 8
; NumVgprs: 14
; ScratchSize: 0
; MemoryBound: 0
; FloatMode: 240
; IeeeMode: 1
; LDSByteSize: 7168 bytes/workgroup (compile time only)
; SGPRBlocks: 0
; VGPRBlocks: 0
; NumSGPRsForWavesPerEU: 8
; NumVGPRsForWavesPerEU: 14
; NamedBarCnt: 0
; Occupancy: 16
; WaveLimiterHint : 1
; COMPUTE_PGM_RSRC2:SCRATCH_EN: 0
; COMPUTE_PGM_RSRC2:USER_SGPR: 2
; COMPUTE_PGM_RSRC2:TRAP_HANDLER: 0
; COMPUTE_PGM_RSRC2:TGID_X_EN: 1
; COMPUTE_PGM_RSRC2:TGID_Y_EN: 0
; COMPUTE_PGM_RSRC2:TGID_Z_EN: 0
; COMPUTE_PGM_RSRC2:TIDIG_COMP_CNT: 0
	.section	.text._Z6kernelI23warp_striped_to_blockediLj256ELj8ELj100EEvPKT0_PKjPS1_,"axG",@progbits,_Z6kernelI23warp_striped_to_blockediLj256ELj8ELj100EEvPKT0_PKjPS1_,comdat
	.protected	_Z6kernelI23warp_striped_to_blockediLj256ELj8ELj100EEvPKT0_PKjPS1_ ; -- Begin function _Z6kernelI23warp_striped_to_blockediLj256ELj8ELj100EEvPKT0_PKjPS1_
	.globl	_Z6kernelI23warp_striped_to_blockediLj256ELj8ELj100EEvPKT0_PKjPS1_
	.p2align	8
	.type	_Z6kernelI23warp_striped_to_blockediLj256ELj8ELj100EEvPKT0_PKjPS1_,@function
_Z6kernelI23warp_striped_to_blockediLj256ELj8ELj100EEvPKT0_PKjPS1_: ; @_Z6kernelI23warp_striped_to_blockediLj256ELj8ELj100EEvPKT0_PKjPS1_
; %bb.0:
	s_load_b64 s[4:5], s[0:1], 0x0
	s_bfe_u32 s6, ttmp6, 0x4000c
	s_and_b32 s2, ttmp6, 15
	s_add_co_i32 s6, s6, 1
	s_getreg_b32 s7, hwreg(HW_REG_IB_STS2, 6, 4)
	s_mul_i32 s6, ttmp9, s6
	v_mbcnt_lo_u32_b32 v14, -1, 0
	s_add_co_i32 s2, s2, s6
	s_cmp_eq_u32 s7, 0
	v_dual_lshlrev_b32 v1, 3, v0 :: v_dual_mov_b32 v3, 0
	s_cselect_b32 s2, ttmp9, s2
	s_mov_b32 s3, 0
	s_lshl_b32 s2, s2, 11
	s_delay_alu instid0(VALU_DEP_1) | instskip(SKIP_3) | instid1(VALU_DEP_3)
	v_and_b32_e32 v15, 0x600, v1
	v_lshlrev_b32_e32 v2, 2, v14
	s_lshl_b64 s[2:3], s[2:3], 2
	v_and_b32_e32 v0, 0xc0, v0
	v_or_b32_e32 v12, 0x80, v15
	s_wait_kmcnt 0x0
	s_add_nc_u64 s[4:5], s[4:5], s[2:3]
	v_or_b32_e32 v13, 0xc0, v15
	v_add_nc_u64_e32 v[4:5], s[4:5], v[2:3]
	v_lshlrev_b32_e32 v2, 2, v15
	v_or_b32_e32 v18, 0x140, v15
	v_or_b32_e32 v19, 0x180, v15
	v_bitop3_b32 v22, v14, 0xdc, v0 bitop3:0xc8
	s_movk_i32 s4, 0x64
	v_lshrrev_b32_e32 v12, 3, v12
	v_add_nc_u64_e32 v[10:11], v[4:5], v[2:3]
	s_clause 0x7
	global_load_b32 v6, v[10:11], off
	global_load_b32 v7, v[10:11], off offset:256
	global_load_b32 v8, v[10:11], off offset:512
	;; [unrolled: 1-line block ×7, first 2 shown]
	s_wait_xcnt 0x0
	v_or_b32_e32 v10, v14, v15
	v_dual_lshrrev_b32 v16, 3, v15 :: v_dual_bitop2_b32 v11, 64, v15 bitop3:0x54
	v_dual_lshrrev_b32 v18, 3, v18 :: v_dual_lshrrev_b32 v19, 3, v19
	s_delay_alu instid0(VALU_DEP_2) | instskip(NEXT) | instid1(VALU_DEP_1)
	v_dual_lshlrev_b32 v17, 2, v10 :: v_dual_lshrrev_b32 v11, 3, v11
	v_dual_add_nc_u32 v10, v16, v17 :: v_dual_bitop2_b32 v21, v14, v0 bitop3:0x54
	s_delay_alu instid0(VALU_DEP_2) | instskip(SKIP_3) | instid1(VALU_DEP_3)
	v_add_nc_u32_e32 v11, v11, v17
	v_or_b32_e32 v16, 0x100, v15
	v_or_b32_e32 v15, 0x1c0, v15
	v_lshrrev_b32_e32 v13, 3, v13
	v_dual_add_nc_u32 v14, v18, v17 :: v_dual_lshrrev_b32 v16, 3, v16
	s_delay_alu instid0(VALU_DEP_3) | instskip(NEXT) | instid1(VALU_DEP_3)
	v_dual_lshrrev_b32 v20, 3, v15 :: v_dual_add_nc_u32 v12, v12, v17
	v_dual_add_nc_u32 v13, v13, v17 :: v_dual_add_nc_u32 v15, v19, v17
	s_delay_alu instid0(VALU_DEP_3) | instskip(NEXT) | instid1(VALU_DEP_3)
	v_add_nc_u32_e32 v0, v16, v17
	v_add_nc_u32_e32 v16, v20, v17
	v_lshl_add_u32 v17, v21, 5, v22
.LBB95_1:                               ; =>This Inner Loop Header: Depth=1
	s_wait_loadcnt 0x7
	ds_store_b32 v10, v6
	s_wait_loadcnt 0x6
	ds_store_b32 v11, v7 offset:256
	s_wait_loadcnt 0x5
	ds_store_b32 v12, v8 offset:512
	;; [unrolled: 2-line block ×7, first 2 shown]
	; wave barrier
	ds_load_2addr_b32 v[6:7], v17 offset1:1
	ds_load_2addr_b32 v[8:9], v17 offset0:2 offset1:3
	ds_load_2addr_b32 v[2:3], v17 offset0:4 offset1:5
	;; [unrolled: 1-line block ×3, first 2 shown]
	s_add_co_i32 s4, s4, -1
	s_wait_dscnt 0x0
	s_cmp_lg_u32 s4, 0
	s_barrier_signal -1
	s_barrier_wait -1
	s_cbranch_scc1 .LBB95_1
; %bb.2:
	s_load_b64 s[0:1], s[0:1], 0x10
	v_lshlrev_b32_e32 v0, 2, v1
	s_wait_kmcnt 0x0
	s_add_nc_u64 s[0:1], s[0:1], s[2:3]
	s_clause 0x1
	global_store_b128 v0, v[6:9], s[0:1]
	global_store_b128 v0, v[2:5], s[0:1] offset:16
	s_endpgm
	.section	.rodata,"a",@progbits
	.p2align	6, 0x0
	.amdhsa_kernel _Z6kernelI23warp_striped_to_blockediLj256ELj8ELj100EEvPKT0_PKjPS1_
		.amdhsa_group_segment_fixed_size 8448
		.amdhsa_private_segment_fixed_size 0
		.amdhsa_kernarg_size 24
		.amdhsa_user_sgpr_count 2
		.amdhsa_user_sgpr_dispatch_ptr 0
		.amdhsa_user_sgpr_queue_ptr 0
		.amdhsa_user_sgpr_kernarg_segment_ptr 1
		.amdhsa_user_sgpr_dispatch_id 0
		.amdhsa_user_sgpr_kernarg_preload_length 0
		.amdhsa_user_sgpr_kernarg_preload_offset 0
		.amdhsa_user_sgpr_private_segment_size 0
		.amdhsa_wavefront_size32 1
		.amdhsa_uses_dynamic_stack 0
		.amdhsa_enable_private_segment 0
		.amdhsa_system_sgpr_workgroup_id_x 1
		.amdhsa_system_sgpr_workgroup_id_y 0
		.amdhsa_system_sgpr_workgroup_id_z 0
		.amdhsa_system_sgpr_workgroup_info 0
		.amdhsa_system_vgpr_workitem_id 0
		.amdhsa_next_free_vgpr 23
		.amdhsa_next_free_sgpr 8
		.amdhsa_named_barrier_count 0
		.amdhsa_reserve_vcc 0
		.amdhsa_float_round_mode_32 0
		.amdhsa_float_round_mode_16_64 0
		.amdhsa_float_denorm_mode_32 3
		.amdhsa_float_denorm_mode_16_64 3
		.amdhsa_fp16_overflow 0
		.amdhsa_memory_ordered 1
		.amdhsa_forward_progress 1
		.amdhsa_inst_pref_size 5
		.amdhsa_round_robin_scheduling 0
		.amdhsa_exception_fp_ieee_invalid_op 0
		.amdhsa_exception_fp_denorm_src 0
		.amdhsa_exception_fp_ieee_div_zero 0
		.amdhsa_exception_fp_ieee_overflow 0
		.amdhsa_exception_fp_ieee_underflow 0
		.amdhsa_exception_fp_ieee_inexact 0
		.amdhsa_exception_int_div_zero 0
	.end_amdhsa_kernel
	.section	.text._Z6kernelI23warp_striped_to_blockediLj256ELj8ELj100EEvPKT0_PKjPS1_,"axG",@progbits,_Z6kernelI23warp_striped_to_blockediLj256ELj8ELj100EEvPKT0_PKjPS1_,comdat
.Lfunc_end95:
	.size	_Z6kernelI23warp_striped_to_blockediLj256ELj8ELj100EEvPKT0_PKjPS1_, .Lfunc_end95-_Z6kernelI23warp_striped_to_blockediLj256ELj8ELj100EEvPKT0_PKjPS1_
                                        ; -- End function
	.set _Z6kernelI23warp_striped_to_blockediLj256ELj8ELj100EEvPKT0_PKjPS1_.num_vgpr, 23
	.set _Z6kernelI23warp_striped_to_blockediLj256ELj8ELj100EEvPKT0_PKjPS1_.num_agpr, 0
	.set _Z6kernelI23warp_striped_to_blockediLj256ELj8ELj100EEvPKT0_PKjPS1_.numbered_sgpr, 8
	.set _Z6kernelI23warp_striped_to_blockediLj256ELj8ELj100EEvPKT0_PKjPS1_.num_named_barrier, 0
	.set _Z6kernelI23warp_striped_to_blockediLj256ELj8ELj100EEvPKT0_PKjPS1_.private_seg_size, 0
	.set _Z6kernelI23warp_striped_to_blockediLj256ELj8ELj100EEvPKT0_PKjPS1_.uses_vcc, 0
	.set _Z6kernelI23warp_striped_to_blockediLj256ELj8ELj100EEvPKT0_PKjPS1_.uses_flat_scratch, 0
	.set _Z6kernelI23warp_striped_to_blockediLj256ELj8ELj100EEvPKT0_PKjPS1_.has_dyn_sized_stack, 0
	.set _Z6kernelI23warp_striped_to_blockediLj256ELj8ELj100EEvPKT0_PKjPS1_.has_recursion, 0
	.set _Z6kernelI23warp_striped_to_blockediLj256ELj8ELj100EEvPKT0_PKjPS1_.has_indirect_call, 0
	.section	.AMDGPU.csdata,"",@progbits
; Kernel info:
; codeLenInByte = 624
; TotalNumSgprs: 8
; NumVgprs: 23
; ScratchSize: 0
; MemoryBound: 0
; FloatMode: 240
; IeeeMode: 1
; LDSByteSize: 8448 bytes/workgroup (compile time only)
; SGPRBlocks: 0
; VGPRBlocks: 1
; NumSGPRsForWavesPerEU: 8
; NumVGPRsForWavesPerEU: 23
; NamedBarCnt: 0
; Occupancy: 16
; WaveLimiterHint : 1
; COMPUTE_PGM_RSRC2:SCRATCH_EN: 0
; COMPUTE_PGM_RSRC2:USER_SGPR: 2
; COMPUTE_PGM_RSRC2:TRAP_HANDLER: 0
; COMPUTE_PGM_RSRC2:TGID_X_EN: 1
; COMPUTE_PGM_RSRC2:TGID_Y_EN: 0
; COMPUTE_PGM_RSRC2:TGID_Z_EN: 0
; COMPUTE_PGM_RSRC2:TIDIG_COMP_CNT: 0
	.section	.text._Z6kernelI23warp_striped_to_blockedaLj256ELj1ELj100EEvPKT0_PKjPS1_,"axG",@progbits,_Z6kernelI23warp_striped_to_blockedaLj256ELj1ELj100EEvPKT0_PKjPS1_,comdat
	.protected	_Z6kernelI23warp_striped_to_blockedaLj256ELj1ELj100EEvPKT0_PKjPS1_ ; -- Begin function _Z6kernelI23warp_striped_to_blockedaLj256ELj1ELj100EEvPKT0_PKjPS1_
	.globl	_Z6kernelI23warp_striped_to_blockedaLj256ELj1ELj100EEvPKT0_PKjPS1_
	.p2align	8
	.type	_Z6kernelI23warp_striped_to_blockedaLj256ELj1ELj100EEvPKT0_PKjPS1_,@function
_Z6kernelI23warp_striped_to_blockedaLj256ELj1ELj100EEvPKT0_PKjPS1_: ; @_Z6kernelI23warp_striped_to_blockedaLj256ELj1ELj100EEvPKT0_PKjPS1_
; %bb.0:
	s_load_b64 s[4:5], s[0:1], 0x0
	s_bfe_u32 s2, ttmp6, 0x4000c
	s_and_b32 s3, ttmp6, 15
	s_add_co_i32 s2, s2, 1
	s_getreg_b32 s6, hwreg(HW_REG_IB_STS2, 6, 4)
	s_mul_i32 s2, ttmp9, s2
	v_mbcnt_lo_u32_b32 v2, -1, 0
	s_add_co_i32 s2, s3, s2
	s_cmp_eq_u32 s6, 0
	v_and_b32_e32 v6, 0xc0, v0
	s_cselect_b32 s2, ttmp9, s2
	v_mov_b32_e32 v3, 0
	s_mov_b32 s3, 0
	s_lshl_b32 s2, s2, 8
	s_wait_kmcnt 0x0
	s_add_nc_u64 s[4:5], s[4:5], s[2:3]
	s_delay_alu instid0(SALU_CYCLE_1) | instskip(SKIP_2) | instid1(VALU_DEP_1)
	v_add_nc_u64_e32 v[4:5], s[4:5], v[2:3]
	v_dual_mov_b32 v7, v3 :: v_dual_add_nc_u32 v2, v2, v6
	s_movk_i32 s4, 0x64
	v_add_nc_u64_e32 v[4:5], v[4:5], v[6:7]
	global_load_u8 v1, v[4:5], off
.LBB96_1:                               ; =>This Inner Loop Header: Depth=1
	s_wait_loadcnt 0x0
	ds_store_b8 v2, v1
	; wave barrier
	ds_load_u8 v1, v2
	s_add_co_i32 s4, s4, -1
	s_wait_dscnt 0x0
	s_cmp_lg_u32 s4, 0
	s_barrier_signal -1
	s_barrier_wait -1
	s_cbranch_scc1 .LBB96_1
; %bb.2:
	s_load_b64 s[0:1], s[0:1], 0x10
	s_wait_kmcnt 0x0
	s_add_nc_u64 s[0:1], s[0:1], s[2:3]
	global_store_b8 v0, v1, s[0:1]
	s_endpgm
	.section	.rodata,"a",@progbits
	.p2align	6, 0x0
	.amdhsa_kernel _Z6kernelI23warp_striped_to_blockedaLj256ELj1ELj100EEvPKT0_PKjPS1_
		.amdhsa_group_segment_fixed_size 256
		.amdhsa_private_segment_fixed_size 0
		.amdhsa_kernarg_size 24
		.amdhsa_user_sgpr_count 2
		.amdhsa_user_sgpr_dispatch_ptr 0
		.amdhsa_user_sgpr_queue_ptr 0
		.amdhsa_user_sgpr_kernarg_segment_ptr 1
		.amdhsa_user_sgpr_dispatch_id 0
		.amdhsa_user_sgpr_kernarg_preload_length 0
		.amdhsa_user_sgpr_kernarg_preload_offset 0
		.amdhsa_user_sgpr_private_segment_size 0
		.amdhsa_wavefront_size32 1
		.amdhsa_uses_dynamic_stack 0
		.amdhsa_enable_private_segment 0
		.amdhsa_system_sgpr_workgroup_id_x 1
		.amdhsa_system_sgpr_workgroup_id_y 0
		.amdhsa_system_sgpr_workgroup_id_z 0
		.amdhsa_system_sgpr_workgroup_info 0
		.amdhsa_system_vgpr_workitem_id 0
		.amdhsa_next_free_vgpr 8
		.amdhsa_next_free_sgpr 7
		.amdhsa_named_barrier_count 0
		.amdhsa_reserve_vcc 0
		.amdhsa_float_round_mode_32 0
		.amdhsa_float_round_mode_16_64 0
		.amdhsa_float_denorm_mode_32 3
		.amdhsa_float_denorm_mode_16_64 3
		.amdhsa_fp16_overflow 0
		.amdhsa_memory_ordered 1
		.amdhsa_forward_progress 1
		.amdhsa_inst_pref_size 2
		.amdhsa_round_robin_scheduling 0
		.amdhsa_exception_fp_ieee_invalid_op 0
		.amdhsa_exception_fp_denorm_src 0
		.amdhsa_exception_fp_ieee_div_zero 0
		.amdhsa_exception_fp_ieee_overflow 0
		.amdhsa_exception_fp_ieee_underflow 0
		.amdhsa_exception_fp_ieee_inexact 0
		.amdhsa_exception_int_div_zero 0
	.end_amdhsa_kernel
	.section	.text._Z6kernelI23warp_striped_to_blockedaLj256ELj1ELj100EEvPKT0_PKjPS1_,"axG",@progbits,_Z6kernelI23warp_striped_to_blockedaLj256ELj1ELj100EEvPKT0_PKjPS1_,comdat
.Lfunc_end96:
	.size	_Z6kernelI23warp_striped_to_blockedaLj256ELj1ELj100EEvPKT0_PKjPS1_, .Lfunc_end96-_Z6kernelI23warp_striped_to_blockedaLj256ELj1ELj100EEvPKT0_PKjPS1_
                                        ; -- End function
	.set _Z6kernelI23warp_striped_to_blockedaLj256ELj1ELj100EEvPKT0_PKjPS1_.num_vgpr, 8
	.set _Z6kernelI23warp_striped_to_blockedaLj256ELj1ELj100EEvPKT0_PKjPS1_.num_agpr, 0
	.set _Z6kernelI23warp_striped_to_blockedaLj256ELj1ELj100EEvPKT0_PKjPS1_.numbered_sgpr, 7
	.set _Z6kernelI23warp_striped_to_blockedaLj256ELj1ELj100EEvPKT0_PKjPS1_.num_named_barrier, 0
	.set _Z6kernelI23warp_striped_to_blockedaLj256ELj1ELj100EEvPKT0_PKjPS1_.private_seg_size, 0
	.set _Z6kernelI23warp_striped_to_blockedaLj256ELj1ELj100EEvPKT0_PKjPS1_.uses_vcc, 0
	.set _Z6kernelI23warp_striped_to_blockedaLj256ELj1ELj100EEvPKT0_PKjPS1_.uses_flat_scratch, 0
	.set _Z6kernelI23warp_striped_to_blockedaLj256ELj1ELj100EEvPKT0_PKjPS1_.has_dyn_sized_stack, 0
	.set _Z6kernelI23warp_striped_to_blockedaLj256ELj1ELj100EEvPKT0_PKjPS1_.has_recursion, 0
	.set _Z6kernelI23warp_striped_to_blockedaLj256ELj1ELj100EEvPKT0_PKjPS1_.has_indirect_call, 0
	.section	.AMDGPU.csdata,"",@progbits
; Kernel info:
; codeLenInByte = 192
; TotalNumSgprs: 7
; NumVgprs: 8
; ScratchSize: 0
; MemoryBound: 0
; FloatMode: 240
; IeeeMode: 1
; LDSByteSize: 256 bytes/workgroup (compile time only)
; SGPRBlocks: 0
; VGPRBlocks: 0
; NumSGPRsForWavesPerEU: 7
; NumVGPRsForWavesPerEU: 8
; NamedBarCnt: 0
; Occupancy: 16
; WaveLimiterHint : 0
; COMPUTE_PGM_RSRC2:SCRATCH_EN: 0
; COMPUTE_PGM_RSRC2:USER_SGPR: 2
; COMPUTE_PGM_RSRC2:TRAP_HANDLER: 0
; COMPUTE_PGM_RSRC2:TGID_X_EN: 1
; COMPUTE_PGM_RSRC2:TGID_Y_EN: 0
; COMPUTE_PGM_RSRC2:TGID_Z_EN: 0
; COMPUTE_PGM_RSRC2:TIDIG_COMP_CNT: 0
	.section	.text._Z6kernelI23warp_striped_to_blockedaLj256ELj2ELj100EEvPKT0_PKjPS1_,"axG",@progbits,_Z6kernelI23warp_striped_to_blockedaLj256ELj2ELj100EEvPKT0_PKjPS1_,comdat
	.protected	_Z6kernelI23warp_striped_to_blockedaLj256ELj2ELj100EEvPKT0_PKjPS1_ ; -- Begin function _Z6kernelI23warp_striped_to_blockedaLj256ELj2ELj100EEvPKT0_PKjPS1_
	.globl	_Z6kernelI23warp_striped_to_blockedaLj256ELj2ELj100EEvPKT0_PKjPS1_
	.p2align	8
	.type	_Z6kernelI23warp_striped_to_blockedaLj256ELj2ELj100EEvPKT0_PKjPS1_,@function
_Z6kernelI23warp_striped_to_blockedaLj256ELj2ELj100EEvPKT0_PKjPS1_: ; @_Z6kernelI23warp_striped_to_blockedaLj256ELj2ELj100EEvPKT0_PKjPS1_
; %bb.0:
	s_load_b64 s[4:5], s[0:1], 0x0
	s_bfe_u32 s2, ttmp6, 0x4000c
	s_and_b32 s6, ttmp6, 15
	s_add_co_i32 s2, s2, 1
	s_getreg_b32 s7, hwreg(HW_REG_IB_STS2, 6, 4)
	s_mul_i32 s2, ttmp9, s2
	v_mbcnt_lo_u32_b32 v2, -1, 0
	s_add_co_i32 s6, s6, s2
	s_cmp_eq_u32 s7, 0
	v_dual_mov_b32 v3, 0 :: v_dual_lshlrev_b32 v1, 1, v0
	s_cselect_b32 s2, ttmp9, s6
	s_mov_b32 s3, 0
	s_lshl_b32 s2, s2, 9
	v_and_b32_e32 v0, 0xc0, v0
	v_mov_b32_e32 v7, v3
	v_and_b32_e32 v6, 0x180, v1
	s_wait_kmcnt 0x0
	s_add_nc_u64 s[4:5], s[4:5], s[2:3]
	s_delay_alu instid0(SALU_CYCLE_1) | instskip(SKIP_1) | instid1(VALU_DEP_1)
	v_add_nc_u64_e32 v[4:5], s[4:5], v[2:3]
	s_movk_i32 s4, 0x64
	v_add_nc_u64_e32 v[4:5], v[4:5], v[6:7]
	s_clause 0x1
	global_load_u8 v3, v[4:5], off offset:64
	global_load_u8 v7, v[4:5], off
	s_wait_xcnt 0x0
	v_or_b32_e32 v4, v2, v0
	v_dual_lshrrev_b32 v5, 5, v6 :: v_dual_bitop2_b32 v2, v2, v6 bitop3:0x54
	v_lshrrev_b32_e32 v6, 4, v0
	s_delay_alu instid0(VALU_DEP_2) | instskip(NEXT) | instid1(VALU_DEP_1)
	v_dual_lshlrev_b32 v4, 1, v4 :: v_dual_add_nc_u32 v0, v5, v2
	v_add_nc_u32_e32 v2, v6, v4
	s_wait_loadcnt 0x0
	v_perm_b32 v3, v7, v3, 0xc0c0004
.LBB97_1:                               ; =>This Inner Loop Header: Depth=1
	s_delay_alu instid0(VALU_DEP_1)
	v_lshrrev_b16 v4, 8, v3
	s_add_co_i32 s4, s4, -1
	ds_store_b8 v0, v3
	ds_store_b8 v0, v4 offset:64
	; wave barrier
	ds_load_u16 v3, v2
	s_cmp_lg_u32 s4, 0
	s_wait_dscnt 0x0
	s_barrier_signal -1
	s_barrier_wait -1
	s_cbranch_scc1 .LBB97_1
; %bb.2:
	s_load_b64 s[0:1], s[0:1], 0x10
	s_wait_kmcnt 0x0
	s_add_nc_u64 s[0:1], s[0:1], s[2:3]
	global_store_b16 v1, v3, s[0:1]
	s_endpgm
	.section	.rodata,"a",@progbits
	.p2align	6, 0x0
	.amdhsa_kernel _Z6kernelI23warp_striped_to_blockedaLj256ELj2ELj100EEvPKT0_PKjPS1_
		.amdhsa_group_segment_fixed_size 528
		.amdhsa_private_segment_fixed_size 0
		.amdhsa_kernarg_size 24
		.amdhsa_user_sgpr_count 2
		.amdhsa_user_sgpr_dispatch_ptr 0
		.amdhsa_user_sgpr_queue_ptr 0
		.amdhsa_user_sgpr_kernarg_segment_ptr 1
		.amdhsa_user_sgpr_dispatch_id 0
		.amdhsa_user_sgpr_kernarg_preload_length 0
		.amdhsa_user_sgpr_kernarg_preload_offset 0
		.amdhsa_user_sgpr_private_segment_size 0
		.amdhsa_wavefront_size32 1
		.amdhsa_uses_dynamic_stack 0
		.amdhsa_enable_private_segment 0
		.amdhsa_system_sgpr_workgroup_id_x 1
		.amdhsa_system_sgpr_workgroup_id_y 0
		.amdhsa_system_sgpr_workgroup_id_z 0
		.amdhsa_system_sgpr_workgroup_info 0
		.amdhsa_system_vgpr_workitem_id 0
		.amdhsa_next_free_vgpr 8
		.amdhsa_next_free_sgpr 8
		.amdhsa_named_barrier_count 0
		.amdhsa_reserve_vcc 0
		.amdhsa_float_round_mode_32 0
		.amdhsa_float_round_mode_16_64 0
		.amdhsa_float_denorm_mode_32 3
		.amdhsa_float_denorm_mode_16_64 3
		.amdhsa_fp16_overflow 0
		.amdhsa_memory_ordered 1
		.amdhsa_forward_progress 1
		.amdhsa_inst_pref_size 3
		.amdhsa_round_robin_scheduling 0
		.amdhsa_exception_fp_ieee_invalid_op 0
		.amdhsa_exception_fp_denorm_src 0
		.amdhsa_exception_fp_ieee_div_zero 0
		.amdhsa_exception_fp_ieee_overflow 0
		.amdhsa_exception_fp_ieee_underflow 0
		.amdhsa_exception_fp_ieee_inexact 0
		.amdhsa_exception_int_div_zero 0
	.end_amdhsa_kernel
	.section	.text._Z6kernelI23warp_striped_to_blockedaLj256ELj2ELj100EEvPKT0_PKjPS1_,"axG",@progbits,_Z6kernelI23warp_striped_to_blockedaLj256ELj2ELj100EEvPKT0_PKjPS1_,comdat
.Lfunc_end97:
	.size	_Z6kernelI23warp_striped_to_blockedaLj256ELj2ELj100EEvPKT0_PKjPS1_, .Lfunc_end97-_Z6kernelI23warp_striped_to_blockedaLj256ELj2ELj100EEvPKT0_PKjPS1_
                                        ; -- End function
	.set _Z6kernelI23warp_striped_to_blockedaLj256ELj2ELj100EEvPKT0_PKjPS1_.num_vgpr, 8
	.set _Z6kernelI23warp_striped_to_blockedaLj256ELj2ELj100EEvPKT0_PKjPS1_.num_agpr, 0
	.set _Z6kernelI23warp_striped_to_blockedaLj256ELj2ELj100EEvPKT0_PKjPS1_.numbered_sgpr, 8
	.set _Z6kernelI23warp_striped_to_blockedaLj256ELj2ELj100EEvPKT0_PKjPS1_.num_named_barrier, 0
	.set _Z6kernelI23warp_striped_to_blockedaLj256ELj2ELj100EEvPKT0_PKjPS1_.private_seg_size, 0
	.set _Z6kernelI23warp_striped_to_blockedaLj256ELj2ELj100EEvPKT0_PKjPS1_.uses_vcc, 0
	.set _Z6kernelI23warp_striped_to_blockedaLj256ELj2ELj100EEvPKT0_PKjPS1_.uses_flat_scratch, 0
	.set _Z6kernelI23warp_striped_to_blockedaLj256ELj2ELj100EEvPKT0_PKjPS1_.has_dyn_sized_stack, 0
	.set _Z6kernelI23warp_striped_to_blockedaLj256ELj2ELj100EEvPKT0_PKjPS1_.has_recursion, 0
	.set _Z6kernelI23warp_striped_to_blockedaLj256ELj2ELj100EEvPKT0_PKjPS1_.has_indirect_call, 0
	.section	.AMDGPU.csdata,"",@progbits
; Kernel info:
; codeLenInByte = 296
; TotalNumSgprs: 8
; NumVgprs: 8
; ScratchSize: 0
; MemoryBound: 0
; FloatMode: 240
; IeeeMode: 1
; LDSByteSize: 528 bytes/workgroup (compile time only)
; SGPRBlocks: 0
; VGPRBlocks: 0
; NumSGPRsForWavesPerEU: 8
; NumVGPRsForWavesPerEU: 8
; NamedBarCnt: 0
; Occupancy: 16
; WaveLimiterHint : 0
; COMPUTE_PGM_RSRC2:SCRATCH_EN: 0
; COMPUTE_PGM_RSRC2:USER_SGPR: 2
; COMPUTE_PGM_RSRC2:TRAP_HANDLER: 0
; COMPUTE_PGM_RSRC2:TGID_X_EN: 1
; COMPUTE_PGM_RSRC2:TGID_Y_EN: 0
; COMPUTE_PGM_RSRC2:TGID_Z_EN: 0
; COMPUTE_PGM_RSRC2:TIDIG_COMP_CNT: 0
	.section	.text._Z6kernelI23warp_striped_to_blockedaLj256ELj3ELj100EEvPKT0_PKjPS1_,"axG",@progbits,_Z6kernelI23warp_striped_to_blockedaLj256ELj3ELj100EEvPKT0_PKjPS1_,comdat
	.protected	_Z6kernelI23warp_striped_to_blockedaLj256ELj3ELj100EEvPKT0_PKjPS1_ ; -- Begin function _Z6kernelI23warp_striped_to_blockedaLj256ELj3ELj100EEvPKT0_PKjPS1_
	.globl	_Z6kernelI23warp_striped_to_blockedaLj256ELj3ELj100EEvPKT0_PKjPS1_
	.p2align	8
	.type	_Z6kernelI23warp_striped_to_blockedaLj256ELj3ELj100EEvPKT0_PKjPS1_,@function
_Z6kernelI23warp_striped_to_blockedaLj256ELj3ELj100EEvPKT0_PKjPS1_: ; @_Z6kernelI23warp_striped_to_blockedaLj256ELj3ELj100EEvPKT0_PKjPS1_
; %bb.0:
	s_load_b64 s[4:5], s[0:1], 0x0
	s_bfe_u32 s2, ttmp6, 0x4000c
	s_and_b32 s6, ttmp6, 15
	s_add_co_i32 s2, s2, 1
	s_getreg_b32 s7, hwreg(HW_REG_IB_STS2, 6, 4)
	s_mul_i32 s2, ttmp9, s2
	v_mbcnt_lo_u32_b32 v2, -1, 0
	s_add_co_i32 s6, s6, s2
	s_cmp_eq_u32 s7, 0
	v_mov_b32_e32 v3, 0
	s_cselect_b32 s2, ttmp9, s6
	s_mov_b32 s3, 0
	s_mulk_i32 s2, 0x300
	v_and_b32_e32 v1, 0xc0, v0
	v_mov_b32_e32 v7, v3
	s_delay_alu instid0(VALU_DEP_2) | instskip(SKIP_2) | instid1(SALU_CYCLE_1)
	v_mul_u32_u24_e32 v6, 3, v1
	s_wait_kmcnt 0x0
	s_add_nc_u64 s[4:5], s[4:5], s[2:3]
	v_add_nc_u64_e32 v[4:5], s[4:5], v[2:3]
	s_movk_i32 s4, 0x64
	s_delay_alu instid0(VALU_DEP_1)
	v_add_nc_u64_e32 v[4:5], v[4:5], v[6:7]
	s_clause 0x2
	global_load_u8 v1, v[4:5], off offset:64
	global_load_u8 v3, v[4:5], off offset:128
	global_load_u8 v6, v[4:5], off
	s_wait_xcnt 0x0
	v_lshrrev_b32_e32 v4, 6, v0
	s_delay_alu instid0(VALU_DEP_1) | instskip(SKIP_3) | instid1(VALU_DEP_3)
	v_mul_u32_u24_e32 v5, 0xc0, v4
	s_wait_loadcnt 0x0
	v_perm_b32 v4, v6, v1, 0xc0c0004
	v_mul_u32_u24_e32 v6, 3, v2
	v_add_nc_u32_e32 v1, v2, v5
	s_delay_alu instid0(VALU_DEP_3) | instskip(NEXT) | instid1(VALU_DEP_3)
	v_lshl_or_b32 v4, v3, 16, v4
	v_add_nc_u32_e32 v2, v6, v5
.LBB98_1:                               ; =>This Inner Loop Header: Depth=1
	s_delay_alu instid0(VALU_DEP_1)
	v_lshrrev_b32_e32 v3, 8, v4
	s_add_co_i32 s4, s4, -1
	ds_store_b8 v1, v4
	ds_store_b8 v1, v3 offset:64
	ds_store_b8_d16_hi v1, v4 offset:128
	; wave barrier
	ds_load_u16 v4, v2 offset:1
	ds_load_u8 v3, v2
	s_cmp_lg_u32 s4, 0
	s_wait_dscnt 0x0
	s_barrier_signal -1
	s_barrier_wait -1
	v_lshlrev_b16 v6, 8, v4
	v_lshrrev_b16 v5, 8, v4
	s_delay_alu instid0(VALU_DEP_2) | instskip(NEXT) | instid1(VALU_DEP_2)
	v_perm_b32 v4, v3, v6, 0xc0c0104
	v_lshlrev_b32_e32 v7, 16, v5
	s_delay_alu instid0(VALU_DEP_1)
	v_or_b32_e32 v4, v4, v7
	s_cbranch_scc1 .LBB98_1
; %bb.2:
	s_load_b64 s[0:1], s[0:1], 0x10
	v_mul_u32_u24_e32 v0, 3, v0
	v_or_b32_e32 v1, v3, v6
	s_wait_kmcnt 0x0
	s_add_nc_u64 s[0:1], s[0:1], s[2:3]
	s_clause 0x1
	global_store_b8 v0, v5, s[0:1] offset:2
	global_store_b16 v0, v1, s[0:1]
	s_endpgm
	.section	.rodata,"a",@progbits
	.p2align	6, 0x0
	.amdhsa_kernel _Z6kernelI23warp_striped_to_blockedaLj256ELj3ELj100EEvPKT0_PKjPS1_
		.amdhsa_group_segment_fixed_size 768
		.amdhsa_private_segment_fixed_size 0
		.amdhsa_kernarg_size 24
		.amdhsa_user_sgpr_count 2
		.amdhsa_user_sgpr_dispatch_ptr 0
		.amdhsa_user_sgpr_queue_ptr 0
		.amdhsa_user_sgpr_kernarg_segment_ptr 1
		.amdhsa_user_sgpr_dispatch_id 0
		.amdhsa_user_sgpr_kernarg_preload_length 0
		.amdhsa_user_sgpr_kernarg_preload_offset 0
		.amdhsa_user_sgpr_private_segment_size 0
		.amdhsa_wavefront_size32 1
		.amdhsa_uses_dynamic_stack 0
		.amdhsa_enable_private_segment 0
		.amdhsa_system_sgpr_workgroup_id_x 1
		.amdhsa_system_sgpr_workgroup_id_y 0
		.amdhsa_system_sgpr_workgroup_id_z 0
		.amdhsa_system_sgpr_workgroup_info 0
		.amdhsa_system_vgpr_workitem_id 0
		.amdhsa_next_free_vgpr 8
		.amdhsa_next_free_sgpr 8
		.amdhsa_named_barrier_count 0
		.amdhsa_reserve_vcc 0
		.amdhsa_float_round_mode_32 0
		.amdhsa_float_round_mode_16_64 0
		.amdhsa_float_denorm_mode_32 3
		.amdhsa_float_denorm_mode_16_64 3
		.amdhsa_fp16_overflow 0
		.amdhsa_memory_ordered 1
		.amdhsa_forward_progress 1
		.amdhsa_inst_pref_size 3
		.amdhsa_round_robin_scheduling 0
		.amdhsa_exception_fp_ieee_invalid_op 0
		.amdhsa_exception_fp_denorm_src 0
		.amdhsa_exception_fp_ieee_div_zero 0
		.amdhsa_exception_fp_ieee_overflow 0
		.amdhsa_exception_fp_ieee_underflow 0
		.amdhsa_exception_fp_ieee_inexact 0
		.amdhsa_exception_int_div_zero 0
	.end_amdhsa_kernel
	.section	.text._Z6kernelI23warp_striped_to_blockedaLj256ELj3ELj100EEvPKT0_PKjPS1_,"axG",@progbits,_Z6kernelI23warp_striped_to_blockedaLj256ELj3ELj100EEvPKT0_PKjPS1_,comdat
.Lfunc_end98:
	.size	_Z6kernelI23warp_striped_to_blockedaLj256ELj3ELj100EEvPKT0_PKjPS1_, .Lfunc_end98-_Z6kernelI23warp_striped_to_blockedaLj256ELj3ELj100EEvPKT0_PKjPS1_
                                        ; -- End function
	.set _Z6kernelI23warp_striped_to_blockedaLj256ELj3ELj100EEvPKT0_PKjPS1_.num_vgpr, 8
	.set _Z6kernelI23warp_striped_to_blockedaLj256ELj3ELj100EEvPKT0_PKjPS1_.num_agpr, 0
	.set _Z6kernelI23warp_striped_to_blockedaLj256ELj3ELj100EEvPKT0_PKjPS1_.numbered_sgpr, 8
	.set _Z6kernelI23warp_striped_to_blockedaLj256ELj3ELj100EEvPKT0_PKjPS1_.num_named_barrier, 0
	.set _Z6kernelI23warp_striped_to_blockedaLj256ELj3ELj100EEvPKT0_PKjPS1_.private_seg_size, 0
	.set _Z6kernelI23warp_striped_to_blockedaLj256ELj3ELj100EEvPKT0_PKjPS1_.uses_vcc, 0
	.set _Z6kernelI23warp_striped_to_blockedaLj256ELj3ELj100EEvPKT0_PKjPS1_.uses_flat_scratch, 0
	.set _Z6kernelI23warp_striped_to_blockedaLj256ELj3ELj100EEvPKT0_PKjPS1_.has_dyn_sized_stack, 0
	.set _Z6kernelI23warp_striped_to_blockedaLj256ELj3ELj100EEvPKT0_PKjPS1_.has_recursion, 0
	.set _Z6kernelI23warp_striped_to_blockedaLj256ELj3ELj100EEvPKT0_PKjPS1_.has_indirect_call, 0
	.section	.AMDGPU.csdata,"",@progbits
; Kernel info:
; codeLenInByte = 380
; TotalNumSgprs: 8
; NumVgprs: 8
; ScratchSize: 0
; MemoryBound: 0
; FloatMode: 240
; IeeeMode: 1
; LDSByteSize: 768 bytes/workgroup (compile time only)
; SGPRBlocks: 0
; VGPRBlocks: 0
; NumSGPRsForWavesPerEU: 8
; NumVGPRsForWavesPerEU: 8
; NamedBarCnt: 0
; Occupancy: 16
; WaveLimiterHint : 0
; COMPUTE_PGM_RSRC2:SCRATCH_EN: 0
; COMPUTE_PGM_RSRC2:USER_SGPR: 2
; COMPUTE_PGM_RSRC2:TRAP_HANDLER: 0
; COMPUTE_PGM_RSRC2:TGID_X_EN: 1
; COMPUTE_PGM_RSRC2:TGID_Y_EN: 0
; COMPUTE_PGM_RSRC2:TGID_Z_EN: 0
; COMPUTE_PGM_RSRC2:TIDIG_COMP_CNT: 0
	.section	.text._Z6kernelI23warp_striped_to_blockedaLj256ELj4ELj100EEvPKT0_PKjPS1_,"axG",@progbits,_Z6kernelI23warp_striped_to_blockedaLj256ELj4ELj100EEvPKT0_PKjPS1_,comdat
	.protected	_Z6kernelI23warp_striped_to_blockedaLj256ELj4ELj100EEvPKT0_PKjPS1_ ; -- Begin function _Z6kernelI23warp_striped_to_blockedaLj256ELj4ELj100EEvPKT0_PKjPS1_
	.globl	_Z6kernelI23warp_striped_to_blockedaLj256ELj4ELj100EEvPKT0_PKjPS1_
	.p2align	8
	.type	_Z6kernelI23warp_striped_to_blockedaLj256ELj4ELj100EEvPKT0_PKjPS1_,@function
_Z6kernelI23warp_striped_to_blockedaLj256ELj4ELj100EEvPKT0_PKjPS1_: ; @_Z6kernelI23warp_striped_to_blockedaLj256ELj4ELj100EEvPKT0_PKjPS1_
; %bb.0:
	s_load_b64 s[4:5], s[0:1], 0x0
	s_bfe_u32 s2, ttmp6, 0x4000c
	s_and_b32 s6, ttmp6, 15
	s_add_co_i32 s2, s2, 1
	s_getreg_b32 s7, hwreg(HW_REG_IB_STS2, 6, 4)
	s_mul_i32 s2, ttmp9, s2
	v_mbcnt_lo_u32_b32 v2, -1, 0
	s_add_co_i32 s6, s6, s2
	s_cmp_eq_u32 s7, 0
	v_dual_mov_b32 v3, 0 :: v_dual_lshlrev_b32 v1, 2, v0
	s_cselect_b32 s2, ttmp9, s6
	s_mov_b32 s3, 0
	s_lshl_b32 s2, s2, 10
	v_and_b32_e32 v0, 0xc0, v0
	v_mov_b32_e32 v7, v3
	v_and_b32_e32 v6, 0x300, v1
	s_delay_alu instid0(VALU_DEP_3) | instskip(SKIP_2) | instid1(SALU_CYCLE_1)
	v_lshrrev_b32_e32 v10, 3, v0
	s_wait_kmcnt 0x0
	s_add_nc_u64 s[4:5], s[4:5], s[2:3]
	v_add_nc_u64_e32 v[4:5], s[4:5], v[2:3]
	s_movk_i32 s4, 0x64
	s_delay_alu instid0(VALU_DEP_1)
	v_add_nc_u64_e32 v[4:5], v[4:5], v[6:7]
	s_clause 0x3
	global_load_u8 v3, v[4:5], off offset:64
	global_load_u8 v7, v[4:5], off offset:128
	global_load_u8 v8, v[4:5], off
	global_load_u8 v9, v[4:5], off offset:192
	s_wait_xcnt 0x0
	v_or_b32_e32 v4, 0x80, v6
	v_or_b32_e32 v5, v2, v0
	v_dual_lshrrev_b32 v0, 5, v6 :: v_dual_bitop2_b32 v2, v2, v6 bitop3:0x54
	s_delay_alu instid0(VALU_DEP_2) | instskip(NEXT) | instid1(VALU_DEP_2)
	v_dual_lshrrev_b32 v4, 5, v4 :: v_dual_lshlrev_b32 v5, 2, v5
	v_add_nc_u32_e32 v0, v0, v2
	s_delay_alu instid0(VALU_DEP_2) | instskip(SKIP_4) | instid1(VALU_DEP_1)
	v_add_nc_u32_e32 v2, v4, v2
	s_wait_loadcnt 0x1
	v_perm_b32 v3, v8, v3, 0xc0c0004
	s_wait_loadcnt 0x0
	v_perm_b32 v6, v7, v9, 0xc0c0004
	v_lshl_or_b32 v4, v6, 16, v3
	v_add_nc_u32_e32 v3, v10, v5
.LBB99_1:                               ; =>This Inner Loop Header: Depth=1
	s_delay_alu instid0(VALU_DEP_2)
	v_dual_lshrrev_b32 v5, 8, v4 :: v_dual_lshrrev_b32 v6, 24, v4
	s_add_co_i32 s4, s4, -1
	ds_store_b8 v0, v4
	ds_store_b8 v0, v5 offset:64
	ds_store_b8_d16_hi v2, v4 offset:128
	ds_store_b8 v2, v6 offset:192
	; wave barrier
	ds_load_b32 v4, v3
	s_cmp_lg_u32 s4, 0
	s_wait_dscnt 0x0
	s_barrier_signal -1
	s_barrier_wait -1
	s_cbranch_scc1 .LBB99_1
; %bb.2:
	s_load_b64 s[0:1], s[0:1], 0x10
	s_wait_kmcnt 0x0
	s_add_nc_u64 s[0:1], s[0:1], s[2:3]
	global_store_b32 v1, v4, s[0:1]
	s_endpgm
	.section	.rodata,"a",@progbits
	.p2align	6, 0x0
	.amdhsa_kernel _Z6kernelI23warp_striped_to_blockedaLj256ELj4ELj100EEvPKT0_PKjPS1_
		.amdhsa_group_segment_fixed_size 1056
		.amdhsa_private_segment_fixed_size 0
		.amdhsa_kernarg_size 24
		.amdhsa_user_sgpr_count 2
		.amdhsa_user_sgpr_dispatch_ptr 0
		.amdhsa_user_sgpr_queue_ptr 0
		.amdhsa_user_sgpr_kernarg_segment_ptr 1
		.amdhsa_user_sgpr_dispatch_id 0
		.amdhsa_user_sgpr_kernarg_preload_length 0
		.amdhsa_user_sgpr_kernarg_preload_offset 0
		.amdhsa_user_sgpr_private_segment_size 0
		.amdhsa_wavefront_size32 1
		.amdhsa_uses_dynamic_stack 0
		.amdhsa_enable_private_segment 0
		.amdhsa_system_sgpr_workgroup_id_x 1
		.amdhsa_system_sgpr_workgroup_id_y 0
		.amdhsa_system_sgpr_workgroup_id_z 0
		.amdhsa_system_sgpr_workgroup_info 0
		.amdhsa_system_vgpr_workitem_id 0
		.amdhsa_next_free_vgpr 11
		.amdhsa_next_free_sgpr 8
		.amdhsa_named_barrier_count 0
		.amdhsa_reserve_vcc 0
		.amdhsa_float_round_mode_32 0
		.amdhsa_float_round_mode_16_64 0
		.amdhsa_float_denorm_mode_32 3
		.amdhsa_float_denorm_mode_16_64 3
		.amdhsa_fp16_overflow 0
		.amdhsa_memory_ordered 1
		.amdhsa_forward_progress 1
		.amdhsa_inst_pref_size 4
		.amdhsa_round_robin_scheduling 0
		.amdhsa_exception_fp_ieee_invalid_op 0
		.amdhsa_exception_fp_denorm_src 0
		.amdhsa_exception_fp_ieee_div_zero 0
		.amdhsa_exception_fp_ieee_overflow 0
		.amdhsa_exception_fp_ieee_underflow 0
		.amdhsa_exception_fp_ieee_inexact 0
		.amdhsa_exception_int_div_zero 0
	.end_amdhsa_kernel
	.section	.text._Z6kernelI23warp_striped_to_blockedaLj256ELj4ELj100EEvPKT0_PKjPS1_,"axG",@progbits,_Z6kernelI23warp_striped_to_blockedaLj256ELj4ELj100EEvPKT0_PKjPS1_,comdat
.Lfunc_end99:
	.size	_Z6kernelI23warp_striped_to_blockedaLj256ELj4ELj100EEvPKT0_PKjPS1_, .Lfunc_end99-_Z6kernelI23warp_striped_to_blockedaLj256ELj4ELj100EEvPKT0_PKjPS1_
                                        ; -- End function
	.set _Z6kernelI23warp_striped_to_blockedaLj256ELj4ELj100EEvPKT0_PKjPS1_.num_vgpr, 11
	.set _Z6kernelI23warp_striped_to_blockedaLj256ELj4ELj100EEvPKT0_PKjPS1_.num_agpr, 0
	.set _Z6kernelI23warp_striped_to_blockedaLj256ELj4ELj100EEvPKT0_PKjPS1_.numbered_sgpr, 8
	.set _Z6kernelI23warp_striped_to_blockedaLj256ELj4ELj100EEvPKT0_PKjPS1_.num_named_barrier, 0
	.set _Z6kernelI23warp_striped_to_blockedaLj256ELj4ELj100EEvPKT0_PKjPS1_.private_seg_size, 0
	.set _Z6kernelI23warp_striped_to_blockedaLj256ELj4ELj100EEvPKT0_PKjPS1_.uses_vcc, 0
	.set _Z6kernelI23warp_striped_to_blockedaLj256ELj4ELj100EEvPKT0_PKjPS1_.uses_flat_scratch, 0
	.set _Z6kernelI23warp_striped_to_blockedaLj256ELj4ELj100EEvPKT0_PKjPS1_.has_dyn_sized_stack, 0
	.set _Z6kernelI23warp_striped_to_blockedaLj256ELj4ELj100EEvPKT0_PKjPS1_.has_recursion, 0
	.set _Z6kernelI23warp_striped_to_blockedaLj256ELj4ELj100EEvPKT0_PKjPS1_.has_indirect_call, 0
	.section	.AMDGPU.csdata,"",@progbits
; Kernel info:
; codeLenInByte = 388
; TotalNumSgprs: 8
; NumVgprs: 11
; ScratchSize: 0
; MemoryBound: 0
; FloatMode: 240
; IeeeMode: 1
; LDSByteSize: 1056 bytes/workgroup (compile time only)
; SGPRBlocks: 0
; VGPRBlocks: 0
; NumSGPRsForWavesPerEU: 8
; NumVGPRsForWavesPerEU: 11
; NamedBarCnt: 0
; Occupancy: 16
; WaveLimiterHint : 0
; COMPUTE_PGM_RSRC2:SCRATCH_EN: 0
; COMPUTE_PGM_RSRC2:USER_SGPR: 2
; COMPUTE_PGM_RSRC2:TRAP_HANDLER: 0
; COMPUTE_PGM_RSRC2:TGID_X_EN: 1
; COMPUTE_PGM_RSRC2:TGID_Y_EN: 0
; COMPUTE_PGM_RSRC2:TGID_Z_EN: 0
; COMPUTE_PGM_RSRC2:TIDIG_COMP_CNT: 0
	.section	.text._Z6kernelI23warp_striped_to_blockedaLj256ELj7ELj100EEvPKT0_PKjPS1_,"axG",@progbits,_Z6kernelI23warp_striped_to_blockedaLj256ELj7ELj100EEvPKT0_PKjPS1_,comdat
	.protected	_Z6kernelI23warp_striped_to_blockedaLj256ELj7ELj100EEvPKT0_PKjPS1_ ; -- Begin function _Z6kernelI23warp_striped_to_blockedaLj256ELj7ELj100EEvPKT0_PKjPS1_
	.globl	_Z6kernelI23warp_striped_to_blockedaLj256ELj7ELj100EEvPKT0_PKjPS1_
	.p2align	8
	.type	_Z6kernelI23warp_striped_to_blockedaLj256ELj7ELj100EEvPKT0_PKjPS1_,@function
_Z6kernelI23warp_striped_to_blockedaLj256ELj7ELj100EEvPKT0_PKjPS1_: ; @_Z6kernelI23warp_striped_to_blockedaLj256ELj7ELj100EEvPKT0_PKjPS1_
; %bb.0:
	s_load_b64 s[4:5], s[0:1], 0x0
	s_bfe_u32 s2, ttmp6, 0x4000c
	s_and_b32 s6, ttmp6, 15
	s_add_co_i32 s2, s2, 1
	s_getreg_b32 s7, hwreg(HW_REG_IB_STS2, 6, 4)
	s_mul_i32 s2, ttmp9, s2
	v_mbcnt_lo_u32_b32 v4, -1, 0
	s_add_co_i32 s6, s6, s2
	s_cmp_eq_u32 s7, 0
	v_mov_b32_e32 v5, 0
	s_cselect_b32 s2, ttmp9, s6
	s_mov_b32 s3, 0
	s_mulk_i32 s2, 0x700
	v_and_b32_e32 v1, 0xc0, v0
	v_mov_b32_e32 v7, v5
	s_delay_alu instid0(VALU_DEP_2) | instskip(SKIP_2) | instid1(SALU_CYCLE_1)
	v_mul_u32_u24_e32 v6, 7, v1
	s_wait_kmcnt 0x0
	s_add_nc_u64 s[4:5], s[4:5], s[2:3]
	v_add_nc_u64_e32 v[2:3], s[4:5], v[4:5]
	s_movk_i32 s4, 0x64
	s_delay_alu instid0(VALU_DEP_1)
	v_add_nc_u64_e32 v[6:7], v[2:3], v[6:7]
	s_clause 0x6
	global_load_u8 v1, v[6:7], off offset:320
	global_load_u8 v2, v[6:7], off offset:384
	;; [unrolled: 1-line block ×4, first 2 shown]
	global_load_u8 v9, v[6:7], off
	global_load_u8 v10, v[6:7], off offset:192
	global_load_u8 v3, v[6:7], off offset:256
	s_wait_xcnt 0x0
	v_lshrrev_b32_e32 v6, 6, v0
	s_delay_alu instid0(VALU_DEP_1)
	v_mul_u32_u24_e32 v7, 0x1c0, v6
	s_wait_loadcnt 0x2
	v_perm_b32 v5, v9, v5, 0xc0c0004
	s_wait_loadcnt 0x1
	v_perm_b32 v6, v8, v10, 0xc0c0004
	v_mul_u32_u24_e32 v8, 7, v4
	v_add_nc_u32_e32 v4, v4, v7
	s_delay_alu instid0(VALU_DEP_3) | instskip(NEXT) | instid1(VALU_DEP_3)
	v_lshl_or_b32 v6, v6, 16, v5
	v_add_nc_u32_e32 v5, v8, v7
.LBB100_1:                              ; =>This Inner Loop Header: Depth=1
	s_delay_alu instid0(VALU_DEP_2)
	v_dual_lshrrev_b32 v7, 8, v6 :: v_dual_lshrrev_b32 v8, 24, v6
	s_add_co_i32 s4, s4, -1
	ds_store_b8 v4, v6
	ds_store_b8 v4, v7 offset:64
	ds_store_b8_d16_hi v4, v6 offset:128
	ds_store_b8 v4, v8 offset:192
	s_wait_loadcnt 0x0
	ds_store_b8 v4, v3 offset:256
	ds_store_b8 v4, v1 offset:320
	;; [unrolled: 1-line block ×3, first 2 shown]
	; wave barrier
	ds_load_u16 v1, v5 offset:5
	ds_load_b32 v6, v5
	ds_load_u8 v3, v5 offset:4
	s_cmp_lg_u32 s4, 0
	s_wait_dscnt 0x0
	s_barrier_signal -1
	s_barrier_wait -1
	v_lshrrev_b32_e32 v2, 8, v1
	s_cbranch_scc1 .LBB100_1
; %bb.2:
	s_load_b64 s[0:1], s[0:1], 0x10
	v_mul_u32_u24_e32 v0, 7, v0
	v_lshrrev_b16 v2, 8, v1
	v_perm_b32 v1, v3, v1, 0xc0c0004
	s_wait_kmcnt 0x0
	s_add_nc_u64 s[0:1], s[0:1], s[2:3]
	s_clause 0x2
	global_store_b8 v0, v2, s[0:1] offset:6
	global_store_b16 v0, v1, s[0:1] offset:4
	global_store_b32 v0, v6, s[0:1]
	s_endpgm
	.section	.rodata,"a",@progbits
	.p2align	6, 0x0
	.amdhsa_kernel _Z6kernelI23warp_striped_to_blockedaLj256ELj7ELj100EEvPKT0_PKjPS1_
		.amdhsa_group_segment_fixed_size 1792
		.amdhsa_private_segment_fixed_size 0
		.amdhsa_kernarg_size 24
		.amdhsa_user_sgpr_count 2
		.amdhsa_user_sgpr_dispatch_ptr 0
		.amdhsa_user_sgpr_queue_ptr 0
		.amdhsa_user_sgpr_kernarg_segment_ptr 1
		.amdhsa_user_sgpr_dispatch_id 0
		.amdhsa_user_sgpr_kernarg_preload_length 0
		.amdhsa_user_sgpr_kernarg_preload_offset 0
		.amdhsa_user_sgpr_private_segment_size 0
		.amdhsa_wavefront_size32 1
		.amdhsa_uses_dynamic_stack 0
		.amdhsa_enable_private_segment 0
		.amdhsa_system_sgpr_workgroup_id_x 1
		.amdhsa_system_sgpr_workgroup_id_y 0
		.amdhsa_system_sgpr_workgroup_id_z 0
		.amdhsa_system_sgpr_workgroup_info 0
		.amdhsa_system_vgpr_workitem_id 0
		.amdhsa_next_free_vgpr 11
		.amdhsa_next_free_sgpr 8
		.amdhsa_named_barrier_count 0
		.amdhsa_reserve_vcc 0
		.amdhsa_float_round_mode_32 0
		.amdhsa_float_round_mode_16_64 0
		.amdhsa_float_denorm_mode_32 3
		.amdhsa_float_denorm_mode_16_64 3
		.amdhsa_fp16_overflow 0
		.amdhsa_memory_ordered 1
		.amdhsa_forward_progress 1
		.amdhsa_inst_pref_size 4
		.amdhsa_round_robin_scheduling 0
		.amdhsa_exception_fp_ieee_invalid_op 0
		.amdhsa_exception_fp_denorm_src 0
		.amdhsa_exception_fp_ieee_div_zero 0
		.amdhsa_exception_fp_ieee_overflow 0
		.amdhsa_exception_fp_ieee_underflow 0
		.amdhsa_exception_fp_ieee_inexact 0
		.amdhsa_exception_int_div_zero 0
	.end_amdhsa_kernel
	.section	.text._Z6kernelI23warp_striped_to_blockedaLj256ELj7ELj100EEvPKT0_PKjPS1_,"axG",@progbits,_Z6kernelI23warp_striped_to_blockedaLj256ELj7ELj100EEvPKT0_PKjPS1_,comdat
.Lfunc_end100:
	.size	_Z6kernelI23warp_striped_to_blockedaLj256ELj7ELj100EEvPKT0_PKjPS1_, .Lfunc_end100-_Z6kernelI23warp_striped_to_blockedaLj256ELj7ELj100EEvPKT0_PKjPS1_
                                        ; -- End function
	.set _Z6kernelI23warp_striped_to_blockedaLj256ELj7ELj100EEvPKT0_PKjPS1_.num_vgpr, 11
	.set _Z6kernelI23warp_striped_to_blockedaLj256ELj7ELj100EEvPKT0_PKjPS1_.num_agpr, 0
	.set _Z6kernelI23warp_striped_to_blockedaLj256ELj7ELj100EEvPKT0_PKjPS1_.numbered_sgpr, 8
	.set _Z6kernelI23warp_striped_to_blockedaLj256ELj7ELj100EEvPKT0_PKjPS1_.num_named_barrier, 0
	.set _Z6kernelI23warp_striped_to_blockedaLj256ELj7ELj100EEvPKT0_PKjPS1_.private_seg_size, 0
	.set _Z6kernelI23warp_striped_to_blockedaLj256ELj7ELj100EEvPKT0_PKjPS1_.uses_vcc, 0
	.set _Z6kernelI23warp_striped_to_blockedaLj256ELj7ELj100EEvPKT0_PKjPS1_.uses_flat_scratch, 0
	.set _Z6kernelI23warp_striped_to_blockedaLj256ELj7ELj100EEvPKT0_PKjPS1_.has_dyn_sized_stack, 0
	.set _Z6kernelI23warp_striped_to_blockedaLj256ELj7ELj100EEvPKT0_PKjPS1_.has_recursion, 0
	.set _Z6kernelI23warp_striped_to_blockedaLj256ELj7ELj100EEvPKT0_PKjPS1_.has_indirect_call, 0
	.section	.AMDGPU.csdata,"",@progbits
; Kernel info:
; codeLenInByte = 484
; TotalNumSgprs: 8
; NumVgprs: 11
; ScratchSize: 0
; MemoryBound: 0
; FloatMode: 240
; IeeeMode: 1
; LDSByteSize: 1792 bytes/workgroup (compile time only)
; SGPRBlocks: 0
; VGPRBlocks: 0
; NumSGPRsForWavesPerEU: 8
; NumVGPRsForWavesPerEU: 11
; NamedBarCnt: 0
; Occupancy: 16
; WaveLimiterHint : 0
; COMPUTE_PGM_RSRC2:SCRATCH_EN: 0
; COMPUTE_PGM_RSRC2:USER_SGPR: 2
; COMPUTE_PGM_RSRC2:TRAP_HANDLER: 0
; COMPUTE_PGM_RSRC2:TGID_X_EN: 1
; COMPUTE_PGM_RSRC2:TGID_Y_EN: 0
; COMPUTE_PGM_RSRC2:TGID_Z_EN: 0
; COMPUTE_PGM_RSRC2:TIDIG_COMP_CNT: 0
	.section	.text._Z6kernelI23warp_striped_to_blockedaLj256ELj8ELj100EEvPKT0_PKjPS1_,"axG",@progbits,_Z6kernelI23warp_striped_to_blockedaLj256ELj8ELj100EEvPKT0_PKjPS1_,comdat
	.protected	_Z6kernelI23warp_striped_to_blockedaLj256ELj8ELj100EEvPKT0_PKjPS1_ ; -- Begin function _Z6kernelI23warp_striped_to_blockedaLj256ELj8ELj100EEvPKT0_PKjPS1_
	.globl	_Z6kernelI23warp_striped_to_blockedaLj256ELj8ELj100EEvPKT0_PKjPS1_
	.p2align	8
	.type	_Z6kernelI23warp_striped_to_blockedaLj256ELj8ELj100EEvPKT0_PKjPS1_,@function
_Z6kernelI23warp_striped_to_blockedaLj256ELj8ELj100EEvPKT0_PKjPS1_: ; @_Z6kernelI23warp_striped_to_blockedaLj256ELj8ELj100EEvPKT0_PKjPS1_
; %bb.0:
	s_load_b64 s[4:5], s[0:1], 0x0
	s_bfe_u32 s2, ttmp6, 0x4000c
	s_and_b32 s6, ttmp6, 15
	s_add_co_i32 s2, s2, 1
	s_getreg_b32 s7, hwreg(HW_REG_IB_STS2, 6, 4)
	s_mul_i32 s2, ttmp9, s2
	v_mbcnt_lo_u32_b32 v4, -1, 0
	s_add_co_i32 s6, s6, s2
	s_cmp_eq_u32 s7, 0
	v_dual_mov_b32 v5, 0 :: v_dual_lshlrev_b32 v2, 3, v0
	s_cselect_b32 s2, ttmp9, s6
	s_mov_b32 s3, 0
	s_lshl_b32 s2, s2, 11
	v_and_or_b32 v0, 0xc0, v0, v4
	v_mov_b32_e32 v9, v5
	v_and_b32_e32 v8, 0x600, v2
	s_wait_kmcnt 0x0
	s_add_nc_u64 s[4:5], s[4:5], s[2:3]
	s_delay_alu instid0(VALU_DEP_1) | instskip(SKIP_3) | instid1(VALU_DEP_1)
	v_or_b32_e32 v3, 0x80, v8
	v_add_nc_u64_e32 v[6:7], s[4:5], v[4:5]
	v_or_b32_e32 v15, 0x180, v8
	s_movk_i32 s4, 0x64
	v_lshrrev_b32_e32 v15, 5, v15
	s_delay_alu instid0(VALU_DEP_3)
	v_add_nc_u64_e32 v[6:7], v[6:7], v[8:9]
	s_clause 0x7
	global_load_u8 v1, v[6:7], off offset:64
	global_load_u8 v5, v[6:7], off offset:384
	;; [unrolled: 1-line block ×4, first 2 shown]
	global_load_u8 v11, v[6:7], off
	global_load_u8 v12, v[6:7], off offset:192
	global_load_u8 v13, v[6:7], off offset:320
	;; [unrolled: 1-line block ×3, first 2 shown]
	s_wait_xcnt 0x0
	v_dual_lshlrev_b32 v7, 3, v0 :: v_dual_lshrrev_b32 v0, 2, v0
	v_or_b32_e32 v6, v4, v8
	v_or_b32_e32 v4, 0x100, v8
	v_lshrrev_b32_e32 v8, 5, v8
	s_delay_alu instid0(VALU_DEP_4) | instskip(NEXT) | instid1(VALU_DEP_2)
	v_dual_lshrrev_b32 v0, 5, v3 :: v_dual_bitop2_b32 v16, 52, v0 bitop3:0x40
	v_dual_lshrrev_b32 v17, 5, v4 :: v_dual_add_nc_u32 v3, v8, v6
	s_delay_alu instid0(VALU_DEP_2) | instskip(NEXT) | instid1(VALU_DEP_3)
	v_add_nc_u32_e32 v7, v16, v7
	v_add_nc_u32_e32 v4, v0, v6
	s_wait_loadcnt 0x3
	v_perm_b32 v1, v11, v1, 0xc0c0004
	s_wait_loadcnt 0x2
	v_perm_b32 v8, v10, v12, 0xc0c0004
	;; [unrolled: 2-line block ×4, first 2 shown]
	v_dual_add_nc_u32 v5, v17, v6 :: v_dual_add_nc_u32 v6, v15, v6
	v_lshl_or_b32 v0, v8, 16, v1
	s_delay_alu instid0(VALU_DEP_3)
	v_lshl_or_b32 v1, v10, 16, v9
.LBB101_1:                              ; =>This Inner Loop Header: Depth=1
	s_delay_alu instid0(VALU_DEP_2) | instskip(NEXT) | instid1(VALU_DEP_2)
	v_dual_lshrrev_b32 v8, 8, v0 :: v_dual_lshrrev_b32 v9, 24, v0
	v_dual_lshrrev_b32 v10, 8, v1 :: v_dual_lshrrev_b32 v11, 24, v1
	ds_store_b8 v3, v0
	ds_store_b8 v3, v8 offset:64
	ds_store_b8_d16_hi v4, v0 offset:128
	ds_store_b8 v4, v9 offset:192
	ds_store_b8 v5, v1 offset:256
	;; [unrolled: 1-line block ×3, first 2 shown]
	ds_store_b8_d16_hi v6, v1 offset:384
	ds_store_b8 v6, v11 offset:448
	; wave barrier
	ds_load_2addr_b32 v[0:1], v7 offset1:1
	s_add_co_i32 s4, s4, -1
	s_wait_dscnt 0x0
	s_cmp_lg_u32 s4, 0
	s_barrier_signal -1
	s_barrier_wait -1
	s_cbranch_scc1 .LBB101_1
; %bb.2:
	s_load_b64 s[0:1], s[0:1], 0x10
	s_wait_kmcnt 0x0
	s_add_nc_u64 s[0:1], s[0:1], s[2:3]
	global_store_b64 v2, v[0:1], s[0:1]
	s_endpgm
	.section	.rodata,"a",@progbits
	.p2align	6, 0x0
	.amdhsa_kernel _Z6kernelI23warp_striped_to_blockedaLj256ELj8ELj100EEvPKT0_PKjPS1_
		.amdhsa_group_segment_fixed_size 2112
		.amdhsa_private_segment_fixed_size 0
		.amdhsa_kernarg_size 24
		.amdhsa_user_sgpr_count 2
		.amdhsa_user_sgpr_dispatch_ptr 0
		.amdhsa_user_sgpr_queue_ptr 0
		.amdhsa_user_sgpr_kernarg_segment_ptr 1
		.amdhsa_user_sgpr_dispatch_id 0
		.amdhsa_user_sgpr_kernarg_preload_length 0
		.amdhsa_user_sgpr_kernarg_preload_offset 0
		.amdhsa_user_sgpr_private_segment_size 0
		.amdhsa_wavefront_size32 1
		.amdhsa_uses_dynamic_stack 0
		.amdhsa_enable_private_segment 0
		.amdhsa_system_sgpr_workgroup_id_x 1
		.amdhsa_system_sgpr_workgroup_id_y 0
		.amdhsa_system_sgpr_workgroup_id_z 0
		.amdhsa_system_sgpr_workgroup_info 0
		.amdhsa_system_vgpr_workitem_id 0
		.amdhsa_next_free_vgpr 18
		.amdhsa_next_free_sgpr 8
		.amdhsa_named_barrier_count 0
		.amdhsa_reserve_vcc 0
		.amdhsa_float_round_mode_32 0
		.amdhsa_float_round_mode_16_64 0
		.amdhsa_float_denorm_mode_32 3
		.amdhsa_float_denorm_mode_16_64 3
		.amdhsa_fp16_overflow 0
		.amdhsa_memory_ordered 1
		.amdhsa_forward_progress 1
		.amdhsa_inst_pref_size 5
		.amdhsa_round_robin_scheduling 0
		.amdhsa_exception_fp_ieee_invalid_op 0
		.amdhsa_exception_fp_denorm_src 0
		.amdhsa_exception_fp_ieee_div_zero 0
		.amdhsa_exception_fp_ieee_overflow 0
		.amdhsa_exception_fp_ieee_underflow 0
		.amdhsa_exception_fp_ieee_inexact 0
		.amdhsa_exception_int_div_zero 0
	.end_amdhsa_kernel
	.section	.text._Z6kernelI23warp_striped_to_blockedaLj256ELj8ELj100EEvPKT0_PKjPS1_,"axG",@progbits,_Z6kernelI23warp_striped_to_blockedaLj256ELj8ELj100EEvPKT0_PKjPS1_,comdat
.Lfunc_end101:
	.size	_Z6kernelI23warp_striped_to_blockedaLj256ELj8ELj100EEvPKT0_PKjPS1_, .Lfunc_end101-_Z6kernelI23warp_striped_to_blockedaLj256ELj8ELj100EEvPKT0_PKjPS1_
                                        ; -- End function
	.set _Z6kernelI23warp_striped_to_blockedaLj256ELj8ELj100EEvPKT0_PKjPS1_.num_vgpr, 18
	.set _Z6kernelI23warp_striped_to_blockedaLj256ELj8ELj100EEvPKT0_PKjPS1_.num_agpr, 0
	.set _Z6kernelI23warp_striped_to_blockedaLj256ELj8ELj100EEvPKT0_PKjPS1_.numbered_sgpr, 8
	.set _Z6kernelI23warp_striped_to_blockedaLj256ELj8ELj100EEvPKT0_PKjPS1_.num_named_barrier, 0
	.set _Z6kernelI23warp_striped_to_blockedaLj256ELj8ELj100EEvPKT0_PKjPS1_.private_seg_size, 0
	.set _Z6kernelI23warp_striped_to_blockedaLj256ELj8ELj100EEvPKT0_PKjPS1_.uses_vcc, 0
	.set _Z6kernelI23warp_striped_to_blockedaLj256ELj8ELj100EEvPKT0_PKjPS1_.uses_flat_scratch, 0
	.set _Z6kernelI23warp_striped_to_blockedaLj256ELj8ELj100EEvPKT0_PKjPS1_.has_dyn_sized_stack, 0
	.set _Z6kernelI23warp_striped_to_blockedaLj256ELj8ELj100EEvPKT0_PKjPS1_.has_recursion, 0
	.set _Z6kernelI23warp_striped_to_blockedaLj256ELj8ELj100EEvPKT0_PKjPS1_.has_indirect_call, 0
	.section	.AMDGPU.csdata,"",@progbits
; Kernel info:
; codeLenInByte = 564
; TotalNumSgprs: 8
; NumVgprs: 18
; ScratchSize: 0
; MemoryBound: 0
; FloatMode: 240
; IeeeMode: 1
; LDSByteSize: 2112 bytes/workgroup (compile time only)
; SGPRBlocks: 0
; VGPRBlocks: 1
; NumSGPRsForWavesPerEU: 8
; NumVGPRsForWavesPerEU: 18
; NamedBarCnt: 0
; Occupancy: 16
; WaveLimiterHint : 0
; COMPUTE_PGM_RSRC2:SCRATCH_EN: 0
; COMPUTE_PGM_RSRC2:USER_SGPR: 2
; COMPUTE_PGM_RSRC2:TRAP_HANDLER: 0
; COMPUTE_PGM_RSRC2:TGID_X_EN: 1
; COMPUTE_PGM_RSRC2:TGID_Y_EN: 0
; COMPUTE_PGM_RSRC2:TGID_Z_EN: 0
; COMPUTE_PGM_RSRC2:TIDIG_COMP_CNT: 0
	.section	.text._Z6kernelI23warp_striped_to_blockedxLj256ELj1ELj100EEvPKT0_PKjPS1_,"axG",@progbits,_Z6kernelI23warp_striped_to_blockedxLj256ELj1ELj100EEvPKT0_PKjPS1_,comdat
	.protected	_Z6kernelI23warp_striped_to_blockedxLj256ELj1ELj100EEvPKT0_PKjPS1_ ; -- Begin function _Z6kernelI23warp_striped_to_blockedxLj256ELj1ELj100EEvPKT0_PKjPS1_
	.globl	_Z6kernelI23warp_striped_to_blockedxLj256ELj1ELj100EEvPKT0_PKjPS1_
	.p2align	8
	.type	_Z6kernelI23warp_striped_to_blockedxLj256ELj1ELj100EEvPKT0_PKjPS1_,@function
_Z6kernelI23warp_striped_to_blockedxLj256ELj1ELj100EEvPKT0_PKjPS1_: ; @_Z6kernelI23warp_striped_to_blockedxLj256ELj1ELj100EEvPKT0_PKjPS1_
; %bb.0:
	s_load_b64 s[4:5], s[0:1], 0x0
	s_bfe_u32 s2, ttmp6, 0x4000c
	s_and_b32 s3, ttmp6, 15
	s_add_co_i32 s2, s2, 1
	s_getreg_b32 s6, hwreg(HW_REG_IB_STS2, 6, 4)
	s_mul_i32 s2, ttmp9, s2
	v_mbcnt_lo_u32_b32 v1, -1, 0
	s_add_co_i32 s3, s3, s2
	s_cmp_eq_u32 s6, 0
	v_mov_b32_e32 v5, 0
	s_cselect_b32 s2, ttmp9, s3
	s_mov_b32 s3, 0
	s_lshl_b32 s2, s2, 8
	v_lshlrev_b32_e32 v4, 3, v1
	s_lshl_b64 s[2:3], s[2:3], 3
	v_and_b32_e32 v1, 0xc0, v0
	s_delay_alu instid0(VALU_DEP_1) | instskip(SKIP_2) | instid1(SALU_CYCLE_1)
	v_dual_mov_b32 v7, v5 :: v_dual_lshlrev_b32 v6, 3, v1
	s_wait_kmcnt 0x0
	s_add_nc_u64 s[4:5], s[4:5], s[2:3]
	v_add_nc_u64_e32 v[2:3], s[4:5], v[4:5]
	s_movk_i32 s4, 0x64
	v_or_b32_e32 v1, v4, v6
	s_delay_alu instid0(VALU_DEP_2)
	v_add_nc_u64_e32 v[2:3], v[2:3], v[6:7]
	global_load_b64 v[2:3], v[2:3], off
.LBB102_1:                              ; =>This Inner Loop Header: Depth=1
	s_wait_loadcnt 0x0
	ds_store_b64 v1, v[2:3]
	; wave barrier
	ds_load_b64 v[2:3], v1
	s_add_co_i32 s4, s4, -1
	s_wait_dscnt 0x0
	s_cmp_lg_u32 s4, 0
	s_barrier_signal -1
	s_barrier_wait -1
	s_cbranch_scc1 .LBB102_1
; %bb.2:
	s_load_b64 s[0:1], s[0:1], 0x10
	s_wait_kmcnt 0x0
	s_add_nc_u64 s[0:1], s[0:1], s[2:3]
	global_store_b64 v0, v[2:3], s[0:1] scale_offset
	s_endpgm
	.section	.rodata,"a",@progbits
	.p2align	6, 0x0
	.amdhsa_kernel _Z6kernelI23warp_striped_to_blockedxLj256ELj1ELj100EEvPKT0_PKjPS1_
		.amdhsa_group_segment_fixed_size 2048
		.amdhsa_private_segment_fixed_size 0
		.amdhsa_kernarg_size 24
		.amdhsa_user_sgpr_count 2
		.amdhsa_user_sgpr_dispatch_ptr 0
		.amdhsa_user_sgpr_queue_ptr 0
		.amdhsa_user_sgpr_kernarg_segment_ptr 1
		.amdhsa_user_sgpr_dispatch_id 0
		.amdhsa_user_sgpr_kernarg_preload_length 0
		.amdhsa_user_sgpr_kernarg_preload_offset 0
		.amdhsa_user_sgpr_private_segment_size 0
		.amdhsa_wavefront_size32 1
		.amdhsa_uses_dynamic_stack 0
		.amdhsa_enable_private_segment 0
		.amdhsa_system_sgpr_workgroup_id_x 1
		.amdhsa_system_sgpr_workgroup_id_y 0
		.amdhsa_system_sgpr_workgroup_id_z 0
		.amdhsa_system_sgpr_workgroup_info 0
		.amdhsa_system_vgpr_workitem_id 0
		.amdhsa_next_free_vgpr 8
		.amdhsa_next_free_sgpr 7
		.amdhsa_named_barrier_count 0
		.amdhsa_reserve_vcc 0
		.amdhsa_float_round_mode_32 0
		.amdhsa_float_round_mode_16_64 0
		.amdhsa_float_denorm_mode_32 3
		.amdhsa_float_denorm_mode_16_64 3
		.amdhsa_fp16_overflow 0
		.amdhsa_memory_ordered 1
		.amdhsa_forward_progress 1
		.amdhsa_inst_pref_size 2
		.amdhsa_round_robin_scheduling 0
		.amdhsa_exception_fp_ieee_invalid_op 0
		.amdhsa_exception_fp_denorm_src 0
		.amdhsa_exception_fp_ieee_div_zero 0
		.amdhsa_exception_fp_ieee_overflow 0
		.amdhsa_exception_fp_ieee_underflow 0
		.amdhsa_exception_fp_ieee_inexact 0
		.amdhsa_exception_int_div_zero 0
	.end_amdhsa_kernel
	.section	.text._Z6kernelI23warp_striped_to_blockedxLj256ELj1ELj100EEvPKT0_PKjPS1_,"axG",@progbits,_Z6kernelI23warp_striped_to_blockedxLj256ELj1ELj100EEvPKT0_PKjPS1_,comdat
.Lfunc_end102:
	.size	_Z6kernelI23warp_striped_to_blockedxLj256ELj1ELj100EEvPKT0_PKjPS1_, .Lfunc_end102-_Z6kernelI23warp_striped_to_blockedxLj256ELj1ELj100EEvPKT0_PKjPS1_
                                        ; -- End function
	.set _Z6kernelI23warp_striped_to_blockedxLj256ELj1ELj100EEvPKT0_PKjPS1_.num_vgpr, 8
	.set _Z6kernelI23warp_striped_to_blockedxLj256ELj1ELj100EEvPKT0_PKjPS1_.num_agpr, 0
	.set _Z6kernelI23warp_striped_to_blockedxLj256ELj1ELj100EEvPKT0_PKjPS1_.numbered_sgpr, 7
	.set _Z6kernelI23warp_striped_to_blockedxLj256ELj1ELj100EEvPKT0_PKjPS1_.num_named_barrier, 0
	.set _Z6kernelI23warp_striped_to_blockedxLj256ELj1ELj100EEvPKT0_PKjPS1_.private_seg_size, 0
	.set _Z6kernelI23warp_striped_to_blockedxLj256ELj1ELj100EEvPKT0_PKjPS1_.uses_vcc, 0
	.set _Z6kernelI23warp_striped_to_blockedxLj256ELj1ELj100EEvPKT0_PKjPS1_.uses_flat_scratch, 0
	.set _Z6kernelI23warp_striped_to_blockedxLj256ELj1ELj100EEvPKT0_PKjPS1_.has_dyn_sized_stack, 0
	.set _Z6kernelI23warp_striped_to_blockedxLj256ELj1ELj100EEvPKT0_PKjPS1_.has_recursion, 0
	.set _Z6kernelI23warp_striped_to_blockedxLj256ELj1ELj100EEvPKT0_PKjPS1_.has_indirect_call, 0
	.section	.AMDGPU.csdata,"",@progbits
; Kernel info:
; codeLenInByte = 208
; TotalNumSgprs: 7
; NumVgprs: 8
; ScratchSize: 0
; MemoryBound: 0
; FloatMode: 240
; IeeeMode: 1
; LDSByteSize: 2048 bytes/workgroup (compile time only)
; SGPRBlocks: 0
; VGPRBlocks: 0
; NumSGPRsForWavesPerEU: 7
; NumVGPRsForWavesPerEU: 8
; NamedBarCnt: 0
; Occupancy: 16
; WaveLimiterHint : 0
; COMPUTE_PGM_RSRC2:SCRATCH_EN: 0
; COMPUTE_PGM_RSRC2:USER_SGPR: 2
; COMPUTE_PGM_RSRC2:TRAP_HANDLER: 0
; COMPUTE_PGM_RSRC2:TGID_X_EN: 1
; COMPUTE_PGM_RSRC2:TGID_Y_EN: 0
; COMPUTE_PGM_RSRC2:TGID_Z_EN: 0
; COMPUTE_PGM_RSRC2:TIDIG_COMP_CNT: 0
	.section	.text._Z6kernelI23warp_striped_to_blockedxLj256ELj2ELj100EEvPKT0_PKjPS1_,"axG",@progbits,_Z6kernelI23warp_striped_to_blockedxLj256ELj2ELj100EEvPKT0_PKjPS1_,comdat
	.protected	_Z6kernelI23warp_striped_to_blockedxLj256ELj2ELj100EEvPKT0_PKjPS1_ ; -- Begin function _Z6kernelI23warp_striped_to_blockedxLj256ELj2ELj100EEvPKT0_PKjPS1_
	.globl	_Z6kernelI23warp_striped_to_blockedxLj256ELj2ELj100EEvPKT0_PKjPS1_
	.p2align	8
	.type	_Z6kernelI23warp_striped_to_blockedxLj256ELj2ELj100EEvPKT0_PKjPS1_,@function
_Z6kernelI23warp_striped_to_blockedxLj256ELj2ELj100EEvPKT0_PKjPS1_: ; @_Z6kernelI23warp_striped_to_blockedxLj256ELj2ELj100EEvPKT0_PKjPS1_
; %bb.0:
	s_load_b64 s[4:5], s[0:1], 0x0
	s_bfe_u32 s6, ttmp6, 0x4000c
	s_and_b32 s2, ttmp6, 15
	s_add_co_i32 s6, s6, 1
	s_getreg_b32 s7, hwreg(HW_REG_IB_STS2, 6, 4)
	s_mul_i32 s6, ttmp9, s6
	v_mbcnt_lo_u32_b32 v8, -1, 0
	s_add_co_i32 s2, s2, s6
	s_cmp_eq_u32 s7, 0
	v_dual_lshlrev_b32 v1, 1, v0 :: v_dual_mov_b32 v3, 0
	s_cselect_b32 s2, ttmp9, s2
	s_mov_b32 s3, 0
	s_lshl_b32 s2, s2, 9
	s_delay_alu instid0(VALU_DEP_1)
	v_and_b32_e32 v9, 0x180, v1
	v_lshlrev_b32_e32 v2, 3, v8
	s_lshl_b64 s[2:3], s[2:3], 3
	s_wait_kmcnt 0x0
	s_add_nc_u64 s[4:5], s[4:5], s[2:3]
	s_delay_alu instid0(VALU_DEP_1) | instid1(SALU_CYCLE_1)
	v_add_nc_u64_e32 v[4:5], s[4:5], v[2:3]
	v_lshlrev_b32_e32 v2, 3, v9
	s_movk_i32 s4, 0x64
	s_delay_alu instid0(VALU_DEP_1)
	v_add_nc_u64_e32 v[6:7], v[4:5], v[2:3]
	s_clause 0x1
	global_load_b64 v[2:3], v[6:7], off
	global_load_b64 v[4:5], v[6:7], off offset:512
	s_wait_xcnt 0x0
	v_and_or_b32 v7, 0xc0, v0, v8
	v_or_b32_e32 v0, v8, v9
	v_dual_lshrrev_b32 v9, 2, v9 :: v_dual_bitop2_b32 v6, 64, v9 bitop3:0x54
	s_delay_alu instid0(VALU_DEP_3) | instskip(NEXT) | instid1(VALU_DEP_2)
	v_lshrrev_b16 v8, 1, v7
	v_dual_lshlrev_b32 v10, 3, v0 :: v_dual_lshrrev_b32 v6, 2, v6
	s_delay_alu instid0(VALU_DEP_2) | instskip(NEXT) | instid1(VALU_DEP_2)
	v_and_b32_e32 v8, 0x68, v8
	v_dual_add_nc_u32 v0, v9, v10 :: v_dual_add_nc_u32 v6, v6, v10
	s_delay_alu instid0(VALU_DEP_2)
	v_lshl_add_u32 v7, v7, 4, v8
.LBB103_1:                              ; =>This Inner Loop Header: Depth=1
	s_wait_loadcnt 0x1
	ds_store_b64 v0, v[2:3]
	s_wait_loadcnt 0x0
	ds_store_b64 v6, v[4:5] offset:512
	; wave barrier
	ds_load_2addr_b64 v[2:5], v7 offset1:1
	s_add_co_i32 s4, s4, -1
	s_wait_dscnt 0x0
	s_cmp_lg_u32 s4, 0
	s_barrier_signal -1
	s_barrier_wait -1
	s_cbranch_scc1 .LBB103_1
; %bb.2:
	s_load_b64 s[0:1], s[0:1], 0x10
	v_lshlrev_b32_e32 v0, 3, v1
	s_wait_kmcnt 0x0
	s_add_nc_u64 s[0:1], s[0:1], s[2:3]
	global_store_b128 v0, v[2:5], s[0:1]
	s_endpgm
	.section	.rodata,"a",@progbits
	.p2align	6, 0x0
	.amdhsa_kernel _Z6kernelI23warp_striped_to_blockedxLj256ELj2ELj100EEvPKT0_PKjPS1_
		.amdhsa_group_segment_fixed_size 4224
		.amdhsa_private_segment_fixed_size 0
		.amdhsa_kernarg_size 24
		.amdhsa_user_sgpr_count 2
		.amdhsa_user_sgpr_dispatch_ptr 0
		.amdhsa_user_sgpr_queue_ptr 0
		.amdhsa_user_sgpr_kernarg_segment_ptr 1
		.amdhsa_user_sgpr_dispatch_id 0
		.amdhsa_user_sgpr_kernarg_preload_length 0
		.amdhsa_user_sgpr_kernarg_preload_offset 0
		.amdhsa_user_sgpr_private_segment_size 0
		.amdhsa_wavefront_size32 1
		.amdhsa_uses_dynamic_stack 0
		.amdhsa_enable_private_segment 0
		.amdhsa_system_sgpr_workgroup_id_x 1
		.amdhsa_system_sgpr_workgroup_id_y 0
		.amdhsa_system_sgpr_workgroup_id_z 0
		.amdhsa_system_sgpr_workgroup_info 0
		.amdhsa_system_vgpr_workitem_id 0
		.amdhsa_next_free_vgpr 11
		.amdhsa_next_free_sgpr 8
		.amdhsa_named_barrier_count 0
		.amdhsa_reserve_vcc 0
		.amdhsa_float_round_mode_32 0
		.amdhsa_float_round_mode_16_64 0
		.amdhsa_float_denorm_mode_32 3
		.amdhsa_float_denorm_mode_16_64 3
		.amdhsa_fp16_overflow 0
		.amdhsa_memory_ordered 1
		.amdhsa_forward_progress 1
		.amdhsa_inst_pref_size 3
		.amdhsa_round_robin_scheduling 0
		.amdhsa_exception_fp_ieee_invalid_op 0
		.amdhsa_exception_fp_denorm_src 0
		.amdhsa_exception_fp_ieee_div_zero 0
		.amdhsa_exception_fp_ieee_overflow 0
		.amdhsa_exception_fp_ieee_underflow 0
		.amdhsa_exception_fp_ieee_inexact 0
		.amdhsa_exception_int_div_zero 0
	.end_amdhsa_kernel
	.section	.text._Z6kernelI23warp_striped_to_blockedxLj256ELj2ELj100EEvPKT0_PKjPS1_,"axG",@progbits,_Z6kernelI23warp_striped_to_blockedxLj256ELj2ELj100EEvPKT0_PKjPS1_,comdat
.Lfunc_end103:
	.size	_Z6kernelI23warp_striped_to_blockedxLj256ELj2ELj100EEvPKT0_PKjPS1_, .Lfunc_end103-_Z6kernelI23warp_striped_to_blockedxLj256ELj2ELj100EEvPKT0_PKjPS1_
                                        ; -- End function
	.set _Z6kernelI23warp_striped_to_blockedxLj256ELj2ELj100EEvPKT0_PKjPS1_.num_vgpr, 11
	.set _Z6kernelI23warp_striped_to_blockedxLj256ELj2ELj100EEvPKT0_PKjPS1_.num_agpr, 0
	.set _Z6kernelI23warp_striped_to_blockedxLj256ELj2ELj100EEvPKT0_PKjPS1_.numbered_sgpr, 8
	.set _Z6kernelI23warp_striped_to_blockedxLj256ELj2ELj100EEvPKT0_PKjPS1_.num_named_barrier, 0
	.set _Z6kernelI23warp_striped_to_blockedxLj256ELj2ELj100EEvPKT0_PKjPS1_.private_seg_size, 0
	.set _Z6kernelI23warp_striped_to_blockedxLj256ELj2ELj100EEvPKT0_PKjPS1_.uses_vcc, 0
	.set _Z6kernelI23warp_striped_to_blockedxLj256ELj2ELj100EEvPKT0_PKjPS1_.uses_flat_scratch, 0
	.set _Z6kernelI23warp_striped_to_blockedxLj256ELj2ELj100EEvPKT0_PKjPS1_.has_dyn_sized_stack, 0
	.set _Z6kernelI23warp_striped_to_blockedxLj256ELj2ELj100EEvPKT0_PKjPS1_.has_recursion, 0
	.set _Z6kernelI23warp_striped_to_blockedxLj256ELj2ELj100EEvPKT0_PKjPS1_.has_indirect_call, 0
	.section	.AMDGPU.csdata,"",@progbits
; Kernel info:
; codeLenInByte = 336
; TotalNumSgprs: 8
; NumVgprs: 11
; ScratchSize: 0
; MemoryBound: 0
; FloatMode: 240
; IeeeMode: 1
; LDSByteSize: 4224 bytes/workgroup (compile time only)
; SGPRBlocks: 0
; VGPRBlocks: 0
; NumSGPRsForWavesPerEU: 8
; NumVGPRsForWavesPerEU: 11
; NamedBarCnt: 0
; Occupancy: 16
; WaveLimiterHint : 1
; COMPUTE_PGM_RSRC2:SCRATCH_EN: 0
; COMPUTE_PGM_RSRC2:USER_SGPR: 2
; COMPUTE_PGM_RSRC2:TRAP_HANDLER: 0
; COMPUTE_PGM_RSRC2:TGID_X_EN: 1
; COMPUTE_PGM_RSRC2:TGID_Y_EN: 0
; COMPUTE_PGM_RSRC2:TGID_Z_EN: 0
; COMPUTE_PGM_RSRC2:TIDIG_COMP_CNT: 0
	.section	.text._Z6kernelI23warp_striped_to_blockedxLj256ELj3ELj100EEvPKT0_PKjPS1_,"axG",@progbits,_Z6kernelI23warp_striped_to_blockedxLj256ELj3ELj100EEvPKT0_PKjPS1_,comdat
	.protected	_Z6kernelI23warp_striped_to_blockedxLj256ELj3ELj100EEvPKT0_PKjPS1_ ; -- Begin function _Z6kernelI23warp_striped_to_blockedxLj256ELj3ELj100EEvPKT0_PKjPS1_
	.globl	_Z6kernelI23warp_striped_to_blockedxLj256ELj3ELj100EEvPKT0_PKjPS1_
	.p2align	8
	.type	_Z6kernelI23warp_striped_to_blockedxLj256ELj3ELj100EEvPKT0_PKjPS1_,@function
_Z6kernelI23warp_striped_to_blockedxLj256ELj3ELj100EEvPKT0_PKjPS1_: ; @_Z6kernelI23warp_striped_to_blockedxLj256ELj3ELj100EEvPKT0_PKjPS1_
; %bb.0:
	s_load_b64 s[4:5], s[0:1], 0x0
	s_bfe_u32 s6, ttmp6, 0x4000c
	s_and_b32 s2, ttmp6, 15
	s_add_co_i32 s6, s6, 1
	s_getreg_b32 s7, hwreg(HW_REG_IB_STS2, 6, 4)
	s_mul_i32 s6, ttmp9, s6
	v_mbcnt_lo_u32_b32 v12, -1, 0
	s_add_co_i32 s2, s2, s6
	s_cmp_eq_u32 s7, 0
	v_and_b32_e32 v1, 0xc0, v0
	s_cselect_b32 s2, ttmp9, s2
	s_mov_b32 s3, 0
	s_mulk_i32 s2, 0x300
	v_dual_mov_b32 v9, 0 :: v_dual_lshlrev_b32 v8, 3, v12
	s_lshl_b64 s[2:3], s[2:3], 3
	v_mul_u32_u24_e32 v1, 3, v1
	s_delay_alu instid0(VALU_DEP_2) | instskip(SKIP_2) | instid1(VALU_DEP_2)
	v_mov_b32_e32 v5, v9
	s_wait_kmcnt 0x0
	s_add_nc_u64 s[4:5], s[4:5], s[2:3]
	v_lshlrev_b32_e32 v4, 3, v1
	v_add_nc_u64_e32 v[2:3], s[4:5], v[8:9]
	v_lshrrev_b32_e32 v1, 6, v0
	s_movk_i32 s4, 0x64
	s_delay_alu instid0(VALU_DEP_1) | instskip(NEXT) | instid1(VALU_DEP_3)
	v_mul_u32_u24_e32 v1, 0xc0, v1
	v_add_nc_u64_e32 v[10:11], v[2:3], v[4:5]
	s_clause 0x2
	global_load_b64 v[2:3], v[10:11], off
	global_load_b64 v[4:5], v[10:11], off offset:512
	global_load_b64 v[6:7], v[10:11], off offset:1024
	v_lshlrev_b32_e32 v9, 3, v1
	s_delay_alu instid0(VALU_DEP_1)
	v_or_b32_e32 v1, v8, v9
	v_mad_u32_u24 v8, v12, 24, v9
.LBB104_1:                              ; =>This Inner Loop Header: Depth=1
	s_wait_loadcnt 0x1
	ds_store_2addr_stride64_b64 v1, v[2:3], v[4:5] offset1:1
	s_wait_loadcnt 0x0
	ds_store_b64 v1, v[6:7] offset:1024
	; wave barrier
	ds_load_2addr_b64 v[2:5], v8 offset1:1
	ds_load_b64 v[6:7], v8 offset:16
	s_add_co_i32 s4, s4, -1
	s_wait_dscnt 0x0
	s_cmp_lg_u32 s4, 0
	s_barrier_signal -1
	s_barrier_wait -1
	s_cbranch_scc1 .LBB104_1
; %bb.2:
	s_load_b64 s[0:1], s[0:1], 0x10
	v_mul_u32_u24_e32 v0, 3, v0
	s_delay_alu instid0(VALU_DEP_1)
	v_lshlrev_b32_e32 v1, 3, v0
	s_wait_kmcnt 0x0
	s_add_nc_u64 s[0:1], s[0:1], s[2:3]
	s_clause 0x1
	global_store_b128 v1, v[2:5], s[0:1]
	global_store_b64 v0, v[6:7], s[0:1] offset:16 scale_offset
	s_endpgm
	.section	.rodata,"a",@progbits
	.p2align	6, 0x0
	.amdhsa_kernel _Z6kernelI23warp_striped_to_blockedxLj256ELj3ELj100EEvPKT0_PKjPS1_
		.amdhsa_group_segment_fixed_size 6144
		.amdhsa_private_segment_fixed_size 0
		.amdhsa_kernarg_size 24
		.amdhsa_user_sgpr_count 2
		.amdhsa_user_sgpr_dispatch_ptr 0
		.amdhsa_user_sgpr_queue_ptr 0
		.amdhsa_user_sgpr_kernarg_segment_ptr 1
		.amdhsa_user_sgpr_dispatch_id 0
		.amdhsa_user_sgpr_kernarg_preload_length 0
		.amdhsa_user_sgpr_kernarg_preload_offset 0
		.amdhsa_user_sgpr_private_segment_size 0
		.amdhsa_wavefront_size32 1
		.amdhsa_uses_dynamic_stack 0
		.amdhsa_enable_private_segment 0
		.amdhsa_system_sgpr_workgroup_id_x 1
		.amdhsa_system_sgpr_workgroup_id_y 0
		.amdhsa_system_sgpr_workgroup_id_z 0
		.amdhsa_system_sgpr_workgroup_info 0
		.amdhsa_system_vgpr_workitem_id 0
		.amdhsa_next_free_vgpr 13
		.amdhsa_next_free_sgpr 8
		.amdhsa_named_barrier_count 0
		.amdhsa_reserve_vcc 0
		.amdhsa_float_round_mode_32 0
		.amdhsa_float_round_mode_16_64 0
		.amdhsa_float_denorm_mode_32 3
		.amdhsa_float_denorm_mode_16_64 3
		.amdhsa_fp16_overflow 0
		.amdhsa_memory_ordered 1
		.amdhsa_forward_progress 1
		.amdhsa_inst_pref_size 3
		.amdhsa_round_robin_scheduling 0
		.amdhsa_exception_fp_ieee_invalid_op 0
		.amdhsa_exception_fp_denorm_src 0
		.amdhsa_exception_fp_ieee_div_zero 0
		.amdhsa_exception_fp_ieee_overflow 0
		.amdhsa_exception_fp_ieee_underflow 0
		.amdhsa_exception_fp_ieee_inexact 0
		.amdhsa_exception_int_div_zero 0
	.end_amdhsa_kernel
	.section	.text._Z6kernelI23warp_striped_to_blockedxLj256ELj3ELj100EEvPKT0_PKjPS1_,"axG",@progbits,_Z6kernelI23warp_striped_to_blockedxLj256ELj3ELj100EEvPKT0_PKjPS1_,comdat
.Lfunc_end104:
	.size	_Z6kernelI23warp_striped_to_blockedxLj256ELj3ELj100EEvPKT0_PKjPS1_, .Lfunc_end104-_Z6kernelI23warp_striped_to_blockedxLj256ELj3ELj100EEvPKT0_PKjPS1_
                                        ; -- End function
	.set _Z6kernelI23warp_striped_to_blockedxLj256ELj3ELj100EEvPKT0_PKjPS1_.num_vgpr, 13
	.set _Z6kernelI23warp_striped_to_blockedxLj256ELj3ELj100EEvPKT0_PKjPS1_.num_agpr, 0
	.set _Z6kernelI23warp_striped_to_blockedxLj256ELj3ELj100EEvPKT0_PKjPS1_.numbered_sgpr, 8
	.set _Z6kernelI23warp_striped_to_blockedxLj256ELj3ELj100EEvPKT0_PKjPS1_.num_named_barrier, 0
	.set _Z6kernelI23warp_striped_to_blockedxLj256ELj3ELj100EEvPKT0_PKjPS1_.private_seg_size, 0
	.set _Z6kernelI23warp_striped_to_blockedxLj256ELj3ELj100EEvPKT0_PKjPS1_.uses_vcc, 0
	.set _Z6kernelI23warp_striped_to_blockedxLj256ELj3ELj100EEvPKT0_PKjPS1_.uses_flat_scratch, 0
	.set _Z6kernelI23warp_striped_to_blockedxLj256ELj3ELj100EEvPKT0_PKjPS1_.has_dyn_sized_stack, 0
	.set _Z6kernelI23warp_striped_to_blockedxLj256ELj3ELj100EEvPKT0_PKjPS1_.has_recursion, 0
	.set _Z6kernelI23warp_striped_to_blockedxLj256ELj3ELj100EEvPKT0_PKjPS1_.has_indirect_call, 0
	.section	.AMDGPU.csdata,"",@progbits
; Kernel info:
; codeLenInByte = 316
; TotalNumSgprs: 8
; NumVgprs: 13
; ScratchSize: 0
; MemoryBound: 0
; FloatMode: 240
; IeeeMode: 1
; LDSByteSize: 6144 bytes/workgroup (compile time only)
; SGPRBlocks: 0
; VGPRBlocks: 0
; NumSGPRsForWavesPerEU: 8
; NumVGPRsForWavesPerEU: 13
; NamedBarCnt: 0
; Occupancy: 16
; WaveLimiterHint : 1
; COMPUTE_PGM_RSRC2:SCRATCH_EN: 0
; COMPUTE_PGM_RSRC2:USER_SGPR: 2
; COMPUTE_PGM_RSRC2:TRAP_HANDLER: 0
; COMPUTE_PGM_RSRC2:TGID_X_EN: 1
; COMPUTE_PGM_RSRC2:TGID_Y_EN: 0
; COMPUTE_PGM_RSRC2:TGID_Z_EN: 0
; COMPUTE_PGM_RSRC2:TIDIG_COMP_CNT: 0
	.section	.text._Z6kernelI23warp_striped_to_blockedxLj256ELj4ELj100EEvPKT0_PKjPS1_,"axG",@progbits,_Z6kernelI23warp_striped_to_blockedxLj256ELj4ELj100EEvPKT0_PKjPS1_,comdat
	.protected	_Z6kernelI23warp_striped_to_blockedxLj256ELj4ELj100EEvPKT0_PKjPS1_ ; -- Begin function _Z6kernelI23warp_striped_to_blockedxLj256ELj4ELj100EEvPKT0_PKjPS1_
	.globl	_Z6kernelI23warp_striped_to_blockedxLj256ELj4ELj100EEvPKT0_PKjPS1_
	.p2align	8
	.type	_Z6kernelI23warp_striped_to_blockedxLj256ELj4ELj100EEvPKT0_PKjPS1_,@function
_Z6kernelI23warp_striped_to_blockedxLj256ELj4ELj100EEvPKT0_PKjPS1_: ; @_Z6kernelI23warp_striped_to_blockedxLj256ELj4ELj100EEvPKT0_PKjPS1_
; %bb.0:
	s_load_b64 s[4:5], s[0:1], 0x0
	s_bfe_u32 s6, ttmp6, 0x4000c
	s_and_b32 s2, ttmp6, 15
	s_add_co_i32 s6, s6, 1
	s_getreg_b32 s7, hwreg(HW_REG_IB_STS2, 6, 4)
	s_mul_i32 s6, ttmp9, s6
	v_mbcnt_lo_u32_b32 v12, -1, 0
	s_add_co_i32 s2, s2, s6
	s_cmp_eq_u32 s7, 0
	v_dual_lshlrev_b32 v1, 2, v0 :: v_dual_mov_b32 v3, 0
	s_cselect_b32 s2, ttmp9, s2
	s_mov_b32 s3, 0
	s_lshl_b32 s2, s2, 10
	s_delay_alu instid0(VALU_DEP_1) | instskip(SKIP_3) | instid1(VALU_DEP_3)
	v_and_b32_e32 v13, 0x300, v1
	v_lshlrev_b32_e32 v2, 3, v12
	s_lshl_b64 s[2:3], s[2:3], 3
	v_and_b32_e32 v0, 0xc0, v0
	v_or_b32_e32 v15, 0x80, v13
	s_wait_kmcnt 0x0
	s_add_nc_u64 s[4:5], s[4:5], s[2:3]
	s_delay_alu instid0(VALU_DEP_2) | instskip(SKIP_3) | instid1(VALU_DEP_1)
	v_bitop3_b32 v17, v12, 0xd8, v0 bitop3:0xc8
	v_add_nc_u64_e32 v[4:5], s[4:5], v[2:3]
	v_lshlrev_b32_e32 v2, 3, v13
	s_movk_i32 s4, 0x64
	v_add_nc_u64_e32 v[10:11], v[4:5], v[2:3]
	s_clause 0x3
	global_load_b64 v[2:3], v[10:11], off
	global_load_b64 v[4:5], v[10:11], off offset:512
	global_load_b64 v[6:7], v[10:11], off offset:1024
	;; [unrolled: 1-line block ×3, first 2 shown]
	s_wait_xcnt 0x0
	v_dual_lshrrev_b32 v11, 2, v13 :: v_dual_bitop2_b32 v10, v12, v13 bitop3:0x54
	v_or_b32_e32 v14, 64, v13
	v_or_b32_e32 v13, 0xc0, v13
	s_delay_alu instid0(VALU_DEP_3) | instskip(NEXT) | instid1(VALU_DEP_3)
	v_lshlrev_b32_e32 v16, 3, v10
	v_dual_lshrrev_b32 v10, 2, v14 :: v_dual_lshrrev_b32 v14, 2, v15
	s_delay_alu instid0(VALU_DEP_3) | instskip(NEXT) | instid1(VALU_DEP_2)
	v_dual_lshrrev_b32 v13, 2, v13 :: v_dual_bitop2_b32 v15, v12, v0 bitop3:0x54
	v_dual_add_nc_u32 v0, v11, v16 :: v_dual_add_nc_u32 v10, v10, v16
	s_delay_alu instid0(VALU_DEP_2) | instskip(NEXT) | instid1(VALU_DEP_3)
	v_dual_add_nc_u32 v11, v14, v16 :: v_dual_add_nc_u32 v12, v13, v16
	v_lshl_add_u32 v13, v15, 5, v17
.LBB105_1:                              ; =>This Inner Loop Header: Depth=1
	s_wait_loadcnt 0x3
	ds_store_b64 v0, v[2:3]
	s_wait_loadcnt 0x2
	ds_store_b64 v10, v[4:5] offset:512
	s_wait_loadcnt 0x1
	ds_store_b64 v11, v[6:7] offset:1024
	;; [unrolled: 2-line block ×3, first 2 shown]
	; wave barrier
	ds_load_2addr_b64 v[2:5], v13 offset1:1
	ds_load_2addr_b64 v[6:9], v13 offset0:2 offset1:3
	s_add_co_i32 s4, s4, -1
	s_wait_dscnt 0x0
	s_cmp_lg_u32 s4, 0
	s_barrier_signal -1
	s_barrier_wait -1
	s_cbranch_scc1 .LBB105_1
; %bb.2:
	s_load_b64 s[0:1], s[0:1], 0x10
	v_lshlrev_b32_e32 v0, 3, v1
	s_wait_kmcnt 0x0
	s_add_nc_u64 s[0:1], s[0:1], s[2:3]
	s_clause 0x1
	global_store_b128 v0, v[2:5], s[0:1]
	global_store_b128 v0, v[6:9], s[0:1] offset:16
	s_endpgm
	.section	.rodata,"a",@progbits
	.p2align	6, 0x0
	.amdhsa_kernel _Z6kernelI23warp_striped_to_blockedxLj256ELj4ELj100EEvPKT0_PKjPS1_
		.amdhsa_group_segment_fixed_size 8448
		.amdhsa_private_segment_fixed_size 0
		.amdhsa_kernarg_size 24
		.amdhsa_user_sgpr_count 2
		.amdhsa_user_sgpr_dispatch_ptr 0
		.amdhsa_user_sgpr_queue_ptr 0
		.amdhsa_user_sgpr_kernarg_segment_ptr 1
		.amdhsa_user_sgpr_dispatch_id 0
		.amdhsa_user_sgpr_kernarg_preload_length 0
		.amdhsa_user_sgpr_kernarg_preload_offset 0
		.amdhsa_user_sgpr_private_segment_size 0
		.amdhsa_wavefront_size32 1
		.amdhsa_uses_dynamic_stack 0
		.amdhsa_enable_private_segment 0
		.amdhsa_system_sgpr_workgroup_id_x 1
		.amdhsa_system_sgpr_workgroup_id_y 0
		.amdhsa_system_sgpr_workgroup_id_z 0
		.amdhsa_system_sgpr_workgroup_info 0
		.amdhsa_system_vgpr_workitem_id 0
		.amdhsa_next_free_vgpr 18
		.amdhsa_next_free_sgpr 8
		.amdhsa_named_barrier_count 0
		.amdhsa_reserve_vcc 0
		.amdhsa_float_round_mode_32 0
		.amdhsa_float_round_mode_16_64 0
		.amdhsa_float_denorm_mode_32 3
		.amdhsa_float_denorm_mode_16_64 3
		.amdhsa_fp16_overflow 0
		.amdhsa_memory_ordered 1
		.amdhsa_forward_progress 1
		.amdhsa_inst_pref_size 4
		.amdhsa_round_robin_scheduling 0
		.amdhsa_exception_fp_ieee_invalid_op 0
		.amdhsa_exception_fp_denorm_src 0
		.amdhsa_exception_fp_ieee_div_zero 0
		.amdhsa_exception_fp_ieee_overflow 0
		.amdhsa_exception_fp_ieee_underflow 0
		.amdhsa_exception_fp_ieee_inexact 0
		.amdhsa_exception_int_div_zero 0
	.end_amdhsa_kernel
	.section	.text._Z6kernelI23warp_striped_to_blockedxLj256ELj4ELj100EEvPKT0_PKjPS1_,"axG",@progbits,_Z6kernelI23warp_striped_to_blockedxLj256ELj4ELj100EEvPKT0_PKjPS1_,comdat
.Lfunc_end105:
	.size	_Z6kernelI23warp_striped_to_blockedxLj256ELj4ELj100EEvPKT0_PKjPS1_, .Lfunc_end105-_Z6kernelI23warp_striped_to_blockedxLj256ELj4ELj100EEvPKT0_PKjPS1_
                                        ; -- End function
	.set _Z6kernelI23warp_striped_to_blockedxLj256ELj4ELj100EEvPKT0_PKjPS1_.num_vgpr, 18
	.set _Z6kernelI23warp_striped_to_blockedxLj256ELj4ELj100EEvPKT0_PKjPS1_.num_agpr, 0
	.set _Z6kernelI23warp_striped_to_blockedxLj256ELj4ELj100EEvPKT0_PKjPS1_.numbered_sgpr, 8
	.set _Z6kernelI23warp_striped_to_blockedxLj256ELj4ELj100EEvPKT0_PKjPS1_.num_named_barrier, 0
	.set _Z6kernelI23warp_striped_to_blockedxLj256ELj4ELj100EEvPKT0_PKjPS1_.private_seg_size, 0
	.set _Z6kernelI23warp_striped_to_blockedxLj256ELj4ELj100EEvPKT0_PKjPS1_.uses_vcc, 0
	.set _Z6kernelI23warp_striped_to_blockedxLj256ELj4ELj100EEvPKT0_PKjPS1_.uses_flat_scratch, 0
	.set _Z6kernelI23warp_striped_to_blockedxLj256ELj4ELj100EEvPKT0_PKjPS1_.has_dyn_sized_stack, 0
	.set _Z6kernelI23warp_striped_to_blockedxLj256ELj4ELj100EEvPKT0_PKjPS1_.has_recursion, 0
	.set _Z6kernelI23warp_striped_to_blockedxLj256ELj4ELj100EEvPKT0_PKjPS1_.has_indirect_call, 0
	.section	.AMDGPU.csdata,"",@progbits
; Kernel info:
; codeLenInByte = 440
; TotalNumSgprs: 8
; NumVgprs: 18
; ScratchSize: 0
; MemoryBound: 0
; FloatMode: 240
; IeeeMode: 1
; LDSByteSize: 8448 bytes/workgroup (compile time only)
; SGPRBlocks: 0
; VGPRBlocks: 1
; NumSGPRsForWavesPerEU: 8
; NumVGPRsForWavesPerEU: 18
; NamedBarCnt: 0
; Occupancy: 16
; WaveLimiterHint : 1
; COMPUTE_PGM_RSRC2:SCRATCH_EN: 0
; COMPUTE_PGM_RSRC2:USER_SGPR: 2
; COMPUTE_PGM_RSRC2:TRAP_HANDLER: 0
; COMPUTE_PGM_RSRC2:TGID_X_EN: 1
; COMPUTE_PGM_RSRC2:TGID_Y_EN: 0
; COMPUTE_PGM_RSRC2:TGID_Z_EN: 0
; COMPUTE_PGM_RSRC2:TIDIG_COMP_CNT: 0
	.section	.text._Z6kernelI23warp_striped_to_blockedxLj256ELj7ELj100EEvPKT0_PKjPS1_,"axG",@progbits,_Z6kernelI23warp_striped_to_blockedxLj256ELj7ELj100EEvPKT0_PKjPS1_,comdat
	.protected	_Z6kernelI23warp_striped_to_blockedxLj256ELj7ELj100EEvPKT0_PKjPS1_ ; -- Begin function _Z6kernelI23warp_striped_to_blockedxLj256ELj7ELj100EEvPKT0_PKjPS1_
	.globl	_Z6kernelI23warp_striped_to_blockedxLj256ELj7ELj100EEvPKT0_PKjPS1_
	.p2align	8
	.type	_Z6kernelI23warp_striped_to_blockedxLj256ELj7ELj100EEvPKT0_PKjPS1_,@function
_Z6kernelI23warp_striped_to_blockedxLj256ELj7ELj100EEvPKT0_PKjPS1_: ; @_Z6kernelI23warp_striped_to_blockedxLj256ELj7ELj100EEvPKT0_PKjPS1_
; %bb.0:
	s_load_b64 s[4:5], s[0:1], 0x0
	s_bfe_u32 s6, ttmp6, 0x4000c
	s_and_b32 s2, ttmp6, 15
	s_add_co_i32 s6, s6, 1
	s_getreg_b32 s7, hwreg(HW_REG_IB_STS2, 6, 4)
	s_mul_i32 s6, ttmp9, s6
	v_mbcnt_lo_u32_b32 v20, -1, 0
	s_add_co_i32 s2, s2, s6
	s_cmp_eq_u32 s7, 0
	v_and_b32_e32 v1, 0xc0, v0
	s_cselect_b32 s2, ttmp9, s2
	s_mov_b32 s3, 0
	s_mulk_i32 s2, 0x700
	v_dual_mov_b32 v17, 0 :: v_dual_lshlrev_b32 v16, 3, v20
	s_lshl_b64 s[2:3], s[2:3], 3
	v_mul_u32_u24_e32 v1, 7, v1
	s_delay_alu instid0(VALU_DEP_2) | instskip(SKIP_2) | instid1(VALU_DEP_2)
	v_mov_b32_e32 v5, v17
	s_wait_kmcnt 0x0
	s_add_nc_u64 s[4:5], s[4:5], s[2:3]
	v_lshlrev_b32_e32 v4, 3, v1
	v_add_nc_u64_e32 v[2:3], s[4:5], v[16:17]
	v_lshrrev_b32_e32 v1, 6, v0
	s_movk_i32 s4, 0x64
	s_delay_alu instid0(VALU_DEP_1) | instskip(NEXT) | instid1(VALU_DEP_3)
	v_mul_u32_u24_e32 v1, 0x1c0, v1
	v_add_nc_u64_e32 v[18:19], v[2:3], v[4:5]
	s_clause 0x6
	global_load_b64 v[2:3], v[18:19], off
	global_load_b64 v[4:5], v[18:19], off offset:512
	global_load_b64 v[6:7], v[18:19], off offset:1024
	;; [unrolled: 1-line block ×6, first 2 shown]
	v_lshlrev_b32_e32 v17, 3, v1
	s_delay_alu instid0(VALU_DEP_1)
	v_or_b32_e32 v1, v16, v17
	v_mad_u32_u24 v16, v20, 56, v17
.LBB106_1:                              ; =>This Inner Loop Header: Depth=1
	s_wait_loadcnt 0x5
	ds_store_2addr_stride64_b64 v1, v[2:3], v[4:5] offset1:1
	s_wait_loadcnt 0x3
	ds_store_2addr_stride64_b64 v1, v[6:7], v[8:9] offset0:2 offset1:3
	s_wait_loadcnt 0x1
	ds_store_2addr_stride64_b64 v1, v[10:11], v[12:13] offset0:4 offset1:5
	s_wait_loadcnt 0x0
	ds_store_b64 v1, v[14:15] offset:3072
	; wave barrier
	ds_load_2addr_b64 v[2:5], v16 offset1:1
	ds_load_2addr_b64 v[6:9], v16 offset0:2 offset1:3
	ds_load_2addr_b64 v[10:13], v16 offset0:4 offset1:5
	ds_load_b64 v[14:15], v16 offset:48
	s_add_co_i32 s4, s4, -1
	s_wait_dscnt 0x0
	s_cmp_lg_u32 s4, 0
	s_barrier_signal -1
	s_barrier_wait -1
	s_cbranch_scc1 .LBB106_1
; %bb.2:
	s_load_b64 s[0:1], s[0:1], 0x10
	v_mul_u32_u24_e32 v0, 7, v0
	s_delay_alu instid0(VALU_DEP_1)
	v_lshlrev_b32_e32 v1, 3, v0
	s_wait_kmcnt 0x0
	s_add_nc_u64 s[0:1], s[0:1], s[2:3]
	s_clause 0x3
	global_store_b128 v1, v[6:9], s[0:1] offset:16
	global_store_b128 v1, v[10:13], s[0:1] offset:32
	global_store_b128 v1, v[2:5], s[0:1]
	global_store_b64 v0, v[14:15], s[0:1] offset:48 scale_offset
	s_endpgm
	.section	.rodata,"a",@progbits
	.p2align	6, 0x0
	.amdhsa_kernel _Z6kernelI23warp_striped_to_blockedxLj256ELj7ELj100EEvPKT0_PKjPS1_
		.amdhsa_group_segment_fixed_size 14336
		.amdhsa_private_segment_fixed_size 0
		.amdhsa_kernarg_size 24
		.amdhsa_user_sgpr_count 2
		.amdhsa_user_sgpr_dispatch_ptr 0
		.amdhsa_user_sgpr_queue_ptr 0
		.amdhsa_user_sgpr_kernarg_segment_ptr 1
		.amdhsa_user_sgpr_dispatch_id 0
		.amdhsa_user_sgpr_kernarg_preload_length 0
		.amdhsa_user_sgpr_kernarg_preload_offset 0
		.amdhsa_user_sgpr_private_segment_size 0
		.amdhsa_wavefront_size32 1
		.amdhsa_uses_dynamic_stack 0
		.amdhsa_enable_private_segment 0
		.amdhsa_system_sgpr_workgroup_id_x 1
		.amdhsa_system_sgpr_workgroup_id_y 0
		.amdhsa_system_sgpr_workgroup_id_z 0
		.amdhsa_system_sgpr_workgroup_info 0
		.amdhsa_system_vgpr_workitem_id 0
		.amdhsa_next_free_vgpr 21
		.amdhsa_next_free_sgpr 8
		.amdhsa_named_barrier_count 0
		.amdhsa_reserve_vcc 0
		.amdhsa_float_round_mode_32 0
		.amdhsa_float_round_mode_16_64 0
		.amdhsa_float_denorm_mode_32 3
		.amdhsa_float_denorm_mode_16_64 3
		.amdhsa_fp16_overflow 0
		.amdhsa_memory_ordered 1
		.amdhsa_forward_progress 1
		.amdhsa_inst_pref_size 4
		.amdhsa_round_robin_scheduling 0
		.amdhsa_exception_fp_ieee_invalid_op 0
		.amdhsa_exception_fp_denorm_src 0
		.amdhsa_exception_fp_ieee_div_zero 0
		.amdhsa_exception_fp_ieee_overflow 0
		.amdhsa_exception_fp_ieee_underflow 0
		.amdhsa_exception_fp_ieee_inexact 0
		.amdhsa_exception_int_div_zero 0
	.end_amdhsa_kernel
	.section	.text._Z6kernelI23warp_striped_to_blockedxLj256ELj7ELj100EEvPKT0_PKjPS1_,"axG",@progbits,_Z6kernelI23warp_striped_to_blockedxLj256ELj7ELj100EEvPKT0_PKjPS1_,comdat
.Lfunc_end106:
	.size	_Z6kernelI23warp_striped_to_blockedxLj256ELj7ELj100EEvPKT0_PKjPS1_, .Lfunc_end106-_Z6kernelI23warp_striped_to_blockedxLj256ELj7ELj100EEvPKT0_PKjPS1_
                                        ; -- End function
	.set _Z6kernelI23warp_striped_to_blockedxLj256ELj7ELj100EEvPKT0_PKjPS1_.num_vgpr, 21
	.set _Z6kernelI23warp_striped_to_blockedxLj256ELj7ELj100EEvPKT0_PKjPS1_.num_agpr, 0
	.set _Z6kernelI23warp_striped_to_blockedxLj256ELj7ELj100EEvPKT0_PKjPS1_.numbered_sgpr, 8
	.set _Z6kernelI23warp_striped_to_blockedxLj256ELj7ELj100EEvPKT0_PKjPS1_.num_named_barrier, 0
	.set _Z6kernelI23warp_striped_to_blockedxLj256ELj7ELj100EEvPKT0_PKjPS1_.private_seg_size, 0
	.set _Z6kernelI23warp_striped_to_blockedxLj256ELj7ELj100EEvPKT0_PKjPS1_.uses_vcc, 0
	.set _Z6kernelI23warp_striped_to_blockedxLj256ELj7ELj100EEvPKT0_PKjPS1_.uses_flat_scratch, 0
	.set _Z6kernelI23warp_striped_to_blockedxLj256ELj7ELj100EEvPKT0_PKjPS1_.has_dyn_sized_stack, 0
	.set _Z6kernelI23warp_striped_to_blockedxLj256ELj7ELj100EEvPKT0_PKjPS1_.has_recursion, 0
	.set _Z6kernelI23warp_striped_to_blockedxLj256ELj7ELj100EEvPKT0_PKjPS1_.has_indirect_call, 0
	.section	.AMDGPU.csdata,"",@progbits
; Kernel info:
; codeLenInByte = 428
; TotalNumSgprs: 8
; NumVgprs: 21
; ScratchSize: 0
; MemoryBound: 0
; FloatMode: 240
; IeeeMode: 1
; LDSByteSize: 14336 bytes/workgroup (compile time only)
; SGPRBlocks: 0
; VGPRBlocks: 1
; NumSGPRsForWavesPerEU: 8
; NumVGPRsForWavesPerEU: 21
; NamedBarCnt: 0
; Occupancy: 16
; WaveLimiterHint : 1
; COMPUTE_PGM_RSRC2:SCRATCH_EN: 0
; COMPUTE_PGM_RSRC2:USER_SGPR: 2
; COMPUTE_PGM_RSRC2:TRAP_HANDLER: 0
; COMPUTE_PGM_RSRC2:TGID_X_EN: 1
; COMPUTE_PGM_RSRC2:TGID_Y_EN: 0
; COMPUTE_PGM_RSRC2:TGID_Z_EN: 0
; COMPUTE_PGM_RSRC2:TIDIG_COMP_CNT: 0
	.section	.text._Z6kernelI23warp_striped_to_blockedxLj256ELj8ELj100EEvPKT0_PKjPS1_,"axG",@progbits,_Z6kernelI23warp_striped_to_blockedxLj256ELj8ELj100EEvPKT0_PKjPS1_,comdat
	.protected	_Z6kernelI23warp_striped_to_blockedxLj256ELj8ELj100EEvPKT0_PKjPS1_ ; -- Begin function _Z6kernelI23warp_striped_to_blockedxLj256ELj8ELj100EEvPKT0_PKjPS1_
	.globl	_Z6kernelI23warp_striped_to_blockedxLj256ELj8ELj100EEvPKT0_PKjPS1_
	.p2align	8
	.type	_Z6kernelI23warp_striped_to_blockedxLj256ELj8ELj100EEvPKT0_PKjPS1_,@function
_Z6kernelI23warp_striped_to_blockedxLj256ELj8ELj100EEvPKT0_PKjPS1_: ; @_Z6kernelI23warp_striped_to_blockedxLj256ELj8ELj100EEvPKT0_PKjPS1_
; %bb.0:
	s_load_b64 s[4:5], s[0:1], 0x0
	s_bfe_u32 s6, ttmp6, 0x4000c
	s_and_b32 s2, ttmp6, 15
	s_add_co_i32 s6, s6, 1
	s_getreg_b32 s7, hwreg(HW_REG_IB_STS2, 6, 4)
	s_mul_i32 s6, ttmp9, s6
	v_mbcnt_lo_u32_b32 v22, -1, 0
	s_add_co_i32 s2, s2, s6
	s_cmp_eq_u32 s7, 0
	v_dual_lshlrev_b32 v1, 3, v0 :: v_dual_mov_b32 v3, 0
	s_cselect_b32 s2, ttmp9, s2
	s_mov_b32 s3, 0
	s_lshl_b32 s2, s2, 11
	s_delay_alu instid0(VALU_DEP_1) | instskip(SKIP_3) | instid1(VALU_DEP_3)
	v_and_b32_e32 v23, 0x600, v1
	v_lshlrev_b32_e32 v2, 3, v22
	s_lshl_b64 s[2:3], s[2:3], 3
	v_and_or_b32 v26, 0xc0, v0, v22
	v_or_b32_e32 v20, 0x80, v23
	s_wait_kmcnt 0x0
	s_add_nc_u64 s[4:5], s[4:5], s[2:3]
	v_or_b32_e32 v21, 0xc0, v23
	v_add_nc_u64_e32 v[4:5], s[4:5], v[2:3]
	v_lshlrev_b32_e32 v2, 3, v23
	v_or_b32_e32 v0, 0x100, v23
	s_delay_alu instid0(VALU_DEP_4)
	v_dual_lshlrev_b32 v27, 1, v26 :: v_dual_lshrrev_b32 v21, 2, v21
	s_movk_i32 s4, 0x64
	v_lshrrev_b32_e32 v20, 2, v20
	v_add_nc_u64_e32 v[18:19], v[4:5], v[2:3]
	s_clause 0x7
	global_load_b64 v[2:3], v[18:19], off
	global_load_b64 v[4:5], v[18:19], off offset:512
	global_load_b64 v[6:7], v[18:19], off offset:1024
	;; [unrolled: 1-line block ×7, first 2 shown]
	s_wait_xcnt 0x0
	v_or_b32_e32 v18, v22, v23
	v_dual_lshrrev_b32 v24, 2, v23 :: v_dual_bitop2_b32 v19, 64, v23 bitop3:0x54
	v_or_b32_e32 v22, 0x140, v23
	s_delay_alu instid0(VALU_DEP_3) | instskip(NEXT) | instid1(VALU_DEP_3)
	v_dual_lshrrev_b32 v0, 2, v0 :: v_dual_lshlrev_b32 v25, 3, v18
	v_lshrrev_b32_e32 v19, 2, v19
	v_and_b32_e32 v27, 0x1b8, v27
	s_delay_alu instid0(VALU_DEP_3) | instskip(NEXT) | instid1(VALU_DEP_3)
	v_dual_lshrrev_b32 v22, 2, v22 :: v_dual_add_nc_u32 v18, v24, v25
	v_add_nc_u32_e32 v19, v19, v25
	v_or_b32_e32 v24, 0x180, v23
	v_or_b32_e32 v23, 0x1c0, v23
	v_dual_add_nc_u32 v20, v20, v25 :: v_dual_add_nc_u32 v21, v21, v25
	v_dual_add_nc_u32 v0, v0, v25 :: v_dual_add_nc_u32 v22, v22, v25
	s_delay_alu instid0(VALU_DEP_3) | instskip(NEXT) | instid1(VALU_DEP_1)
	v_dual_lshrrev_b32 v24, 2, v24 :: v_dual_lshrrev_b32 v28, 2, v23
	v_add_nc_u32_e32 v23, v24, v25
	s_delay_alu instid0(VALU_DEP_2)
	v_add_nc_u32_e32 v24, v28, v25
	v_lshl_add_u32 v25, v26, 6, v27
.LBB107_1:                              ; =>This Inner Loop Header: Depth=1
	s_wait_loadcnt 0x7
	ds_store_b64 v18, v[2:3]
	s_wait_loadcnt 0x6
	ds_store_b64 v19, v[4:5] offset:512
	s_wait_loadcnt 0x5
	ds_store_b64 v20, v[6:7] offset:1024
	;; [unrolled: 2-line block ×7, first 2 shown]
	; wave barrier
	ds_load_2addr_b64 v[2:5], v25 offset1:1
	ds_load_2addr_b64 v[6:9], v25 offset0:2 offset1:3
	ds_load_2addr_b64 v[10:13], v25 offset0:4 offset1:5
	;; [unrolled: 1-line block ×3, first 2 shown]
	s_add_co_i32 s4, s4, -1
	s_wait_dscnt 0x0
	s_cmp_lg_u32 s4, 0
	s_barrier_signal -1
	s_barrier_wait -1
	s_cbranch_scc1 .LBB107_1
; %bb.2:
	s_load_b64 s[0:1], s[0:1], 0x10
	v_lshlrev_b32_e32 v0, 3, v1
	s_wait_kmcnt 0x0
	s_add_nc_u64 s[0:1], s[0:1], s[2:3]
	s_clause 0x3
	global_store_b128 v0, v[2:5], s[0:1]
	global_store_b128 v0, v[6:9], s[0:1] offset:16
	global_store_b128 v0, v[10:13], s[0:1] offset:32
	;; [unrolled: 1-line block ×3, first 2 shown]
	s_endpgm
	.section	.rodata,"a",@progbits
	.p2align	6, 0x0
	.amdhsa_kernel _Z6kernelI23warp_striped_to_blockedxLj256ELj8ELj100EEvPKT0_PKjPS1_
		.amdhsa_group_segment_fixed_size 16896
		.amdhsa_private_segment_fixed_size 0
		.amdhsa_kernarg_size 24
		.amdhsa_user_sgpr_count 2
		.amdhsa_user_sgpr_dispatch_ptr 0
		.amdhsa_user_sgpr_queue_ptr 0
		.amdhsa_user_sgpr_kernarg_segment_ptr 1
		.amdhsa_user_sgpr_dispatch_id 0
		.amdhsa_user_sgpr_kernarg_preload_length 0
		.amdhsa_user_sgpr_kernarg_preload_offset 0
		.amdhsa_user_sgpr_private_segment_size 0
		.amdhsa_wavefront_size32 1
		.amdhsa_uses_dynamic_stack 0
		.amdhsa_enable_private_segment 0
		.amdhsa_system_sgpr_workgroup_id_x 1
		.amdhsa_system_sgpr_workgroup_id_y 0
		.amdhsa_system_sgpr_workgroup_id_z 0
		.amdhsa_system_sgpr_workgroup_info 0
		.amdhsa_system_vgpr_workitem_id 0
		.amdhsa_next_free_vgpr 29
		.amdhsa_next_free_sgpr 8
		.amdhsa_named_barrier_count 0
		.amdhsa_reserve_vcc 0
		.amdhsa_float_round_mode_32 0
		.amdhsa_float_round_mode_16_64 0
		.amdhsa_float_denorm_mode_32 3
		.amdhsa_float_denorm_mode_16_64 3
		.amdhsa_fp16_overflow 0
		.amdhsa_memory_ordered 1
		.amdhsa_forward_progress 1
		.amdhsa_inst_pref_size 6
		.amdhsa_round_robin_scheduling 0
		.amdhsa_exception_fp_ieee_invalid_op 0
		.amdhsa_exception_fp_denorm_src 0
		.amdhsa_exception_fp_ieee_div_zero 0
		.amdhsa_exception_fp_ieee_overflow 0
		.amdhsa_exception_fp_ieee_underflow 0
		.amdhsa_exception_fp_ieee_inexact 0
		.amdhsa_exception_int_div_zero 0
	.end_amdhsa_kernel
	.section	.text._Z6kernelI23warp_striped_to_blockedxLj256ELj8ELj100EEvPKT0_PKjPS1_,"axG",@progbits,_Z6kernelI23warp_striped_to_blockedxLj256ELj8ELj100EEvPKT0_PKjPS1_,comdat
.Lfunc_end107:
	.size	_Z6kernelI23warp_striped_to_blockedxLj256ELj8ELj100EEvPKT0_PKjPS1_, .Lfunc_end107-_Z6kernelI23warp_striped_to_blockedxLj256ELj8ELj100EEvPKT0_PKjPS1_
                                        ; -- End function
	.set _Z6kernelI23warp_striped_to_blockedxLj256ELj8ELj100EEvPKT0_PKjPS1_.num_vgpr, 29
	.set _Z6kernelI23warp_striped_to_blockedxLj256ELj8ELj100EEvPKT0_PKjPS1_.num_agpr, 0
	.set _Z6kernelI23warp_striped_to_blockedxLj256ELj8ELj100EEvPKT0_PKjPS1_.numbered_sgpr, 8
	.set _Z6kernelI23warp_striped_to_blockedxLj256ELj8ELj100EEvPKT0_PKjPS1_.num_named_barrier, 0
	.set _Z6kernelI23warp_striped_to_blockedxLj256ELj8ELj100EEvPKT0_PKjPS1_.private_seg_size, 0
	.set _Z6kernelI23warp_striped_to_blockedxLj256ELj8ELj100EEvPKT0_PKjPS1_.uses_vcc, 0
	.set _Z6kernelI23warp_striped_to_blockedxLj256ELj8ELj100EEvPKT0_PKjPS1_.uses_flat_scratch, 0
	.set _Z6kernelI23warp_striped_to_blockedxLj256ELj8ELj100EEvPKT0_PKjPS1_.has_dyn_sized_stack, 0
	.set _Z6kernelI23warp_striped_to_blockedxLj256ELj8ELj100EEvPKT0_PKjPS1_.has_recursion, 0
	.set _Z6kernelI23warp_striped_to_blockedxLj256ELj8ELj100EEvPKT0_PKjPS1_.has_indirect_call, 0
	.section	.AMDGPU.csdata,"",@progbits
; Kernel info:
; codeLenInByte = 652
; TotalNumSgprs: 8
; NumVgprs: 29
; ScratchSize: 0
; MemoryBound: 0
; FloatMode: 240
; IeeeMode: 1
; LDSByteSize: 16896 bytes/workgroup (compile time only)
; SGPRBlocks: 0
; VGPRBlocks: 1
; NumSGPRsForWavesPerEU: 8
; NumVGPRsForWavesPerEU: 29
; NamedBarCnt: 0
; Occupancy: 16
; WaveLimiterHint : 1
; COMPUTE_PGM_RSRC2:SCRATCH_EN: 0
; COMPUTE_PGM_RSRC2:USER_SGPR: 2
; COMPUTE_PGM_RSRC2:TRAP_HANDLER: 0
; COMPUTE_PGM_RSRC2:TGID_X_EN: 1
; COMPUTE_PGM_RSRC2:TGID_Y_EN: 0
; COMPUTE_PGM_RSRC2:TGID_Z_EN: 0
; COMPUTE_PGM_RSRC2:TIDIG_COMP_CNT: 0
	.section	.text._Z6kernelI23warp_striped_to_blockedN15benchmark_utils11custom_typeIffEELj256ELj1ELj100EEvPKT0_PKjPS4_,"axG",@progbits,_Z6kernelI23warp_striped_to_blockedN15benchmark_utils11custom_typeIffEELj256ELj1ELj100EEvPKT0_PKjPS4_,comdat
	.protected	_Z6kernelI23warp_striped_to_blockedN15benchmark_utils11custom_typeIffEELj256ELj1ELj100EEvPKT0_PKjPS4_ ; -- Begin function _Z6kernelI23warp_striped_to_blockedN15benchmark_utils11custom_typeIffEELj256ELj1ELj100EEvPKT0_PKjPS4_
	.globl	_Z6kernelI23warp_striped_to_blockedN15benchmark_utils11custom_typeIffEELj256ELj1ELj100EEvPKT0_PKjPS4_
	.p2align	8
	.type	_Z6kernelI23warp_striped_to_blockedN15benchmark_utils11custom_typeIffEELj256ELj1ELj100EEvPKT0_PKjPS4_,@function
_Z6kernelI23warp_striped_to_blockedN15benchmark_utils11custom_typeIffEELj256ELj1ELj100EEvPKT0_PKjPS4_: ; @_Z6kernelI23warp_striped_to_blockedN15benchmark_utils11custom_typeIffEELj256ELj1ELj100EEvPKT0_PKjPS4_
; %bb.0:
	s_load_b64 s[4:5], s[0:1], 0x0
	s_bfe_u32 s2, ttmp6, 0x4000c
	s_and_b32 s3, ttmp6, 15
	s_add_co_i32 s2, s2, 1
	s_getreg_b32 s6, hwreg(HW_REG_IB_STS2, 6, 4)
	s_mul_i32 s2, ttmp9, s2
	v_mbcnt_lo_u32_b32 v1, -1, 0
	s_add_co_i32 s3, s3, s2
	s_cmp_eq_u32 s6, 0
	v_mov_b32_e32 v5, 0
	s_cselect_b32 s2, ttmp9, s3
	s_mov_b32 s3, 0
	s_lshl_b32 s2, s2, 8
	v_lshlrev_b32_e32 v4, 3, v1
	s_lshl_b64 s[2:3], s[2:3], 3
	v_and_b32_e32 v1, 0xc0, v0
	s_delay_alu instid0(VALU_DEP_1) | instskip(SKIP_2) | instid1(SALU_CYCLE_1)
	v_dual_mov_b32 v7, v5 :: v_dual_lshlrev_b32 v6, 3, v1
	s_wait_kmcnt 0x0
	s_add_nc_u64 s[4:5], s[4:5], s[2:3]
	v_add_nc_u64_e32 v[2:3], s[4:5], v[4:5]
	s_movk_i32 s4, 0x64
	v_or_b32_e32 v1, v4, v6
	s_delay_alu instid0(VALU_DEP_2)
	v_add_nc_u64_e32 v[2:3], v[2:3], v[6:7]
	global_load_b64 v[2:3], v[2:3], off
.LBB108_1:                              ; =>This Inner Loop Header: Depth=1
	s_wait_loadcnt 0x0
	ds_store_b64 v1, v[2:3]
	; wave barrier
	ds_load_b64 v[2:3], v1
	s_add_co_i32 s4, s4, -1
	s_wait_dscnt 0x0
	s_cmp_lg_u32 s4, 0
	s_barrier_signal -1
	s_barrier_wait -1
	s_cbranch_scc1 .LBB108_1
; %bb.2:
	s_load_b64 s[0:1], s[0:1], 0x10
	s_wait_kmcnt 0x0
	s_add_nc_u64 s[0:1], s[0:1], s[2:3]
	global_store_b64 v0, v[2:3], s[0:1] scale_offset
	s_endpgm
	.section	.rodata,"a",@progbits
	.p2align	6, 0x0
	.amdhsa_kernel _Z6kernelI23warp_striped_to_blockedN15benchmark_utils11custom_typeIffEELj256ELj1ELj100EEvPKT0_PKjPS4_
		.amdhsa_group_segment_fixed_size 2048
		.amdhsa_private_segment_fixed_size 0
		.amdhsa_kernarg_size 24
		.amdhsa_user_sgpr_count 2
		.amdhsa_user_sgpr_dispatch_ptr 0
		.amdhsa_user_sgpr_queue_ptr 0
		.amdhsa_user_sgpr_kernarg_segment_ptr 1
		.amdhsa_user_sgpr_dispatch_id 0
		.amdhsa_user_sgpr_kernarg_preload_length 0
		.amdhsa_user_sgpr_kernarg_preload_offset 0
		.amdhsa_user_sgpr_private_segment_size 0
		.amdhsa_wavefront_size32 1
		.amdhsa_uses_dynamic_stack 0
		.amdhsa_enable_private_segment 0
		.amdhsa_system_sgpr_workgroup_id_x 1
		.amdhsa_system_sgpr_workgroup_id_y 0
		.amdhsa_system_sgpr_workgroup_id_z 0
		.amdhsa_system_sgpr_workgroup_info 0
		.amdhsa_system_vgpr_workitem_id 0
		.amdhsa_next_free_vgpr 8
		.amdhsa_next_free_sgpr 7
		.amdhsa_named_barrier_count 0
		.amdhsa_reserve_vcc 0
		.amdhsa_float_round_mode_32 0
		.amdhsa_float_round_mode_16_64 0
		.amdhsa_float_denorm_mode_32 3
		.amdhsa_float_denorm_mode_16_64 3
		.amdhsa_fp16_overflow 0
		.amdhsa_memory_ordered 1
		.amdhsa_forward_progress 1
		.amdhsa_inst_pref_size 2
		.amdhsa_round_robin_scheduling 0
		.amdhsa_exception_fp_ieee_invalid_op 0
		.amdhsa_exception_fp_denorm_src 0
		.amdhsa_exception_fp_ieee_div_zero 0
		.amdhsa_exception_fp_ieee_overflow 0
		.amdhsa_exception_fp_ieee_underflow 0
		.amdhsa_exception_fp_ieee_inexact 0
		.amdhsa_exception_int_div_zero 0
	.end_amdhsa_kernel
	.section	.text._Z6kernelI23warp_striped_to_blockedN15benchmark_utils11custom_typeIffEELj256ELj1ELj100EEvPKT0_PKjPS4_,"axG",@progbits,_Z6kernelI23warp_striped_to_blockedN15benchmark_utils11custom_typeIffEELj256ELj1ELj100EEvPKT0_PKjPS4_,comdat
.Lfunc_end108:
	.size	_Z6kernelI23warp_striped_to_blockedN15benchmark_utils11custom_typeIffEELj256ELj1ELj100EEvPKT0_PKjPS4_, .Lfunc_end108-_Z6kernelI23warp_striped_to_blockedN15benchmark_utils11custom_typeIffEELj256ELj1ELj100EEvPKT0_PKjPS4_
                                        ; -- End function
	.set _Z6kernelI23warp_striped_to_blockedN15benchmark_utils11custom_typeIffEELj256ELj1ELj100EEvPKT0_PKjPS4_.num_vgpr, 8
	.set _Z6kernelI23warp_striped_to_blockedN15benchmark_utils11custom_typeIffEELj256ELj1ELj100EEvPKT0_PKjPS4_.num_agpr, 0
	.set _Z6kernelI23warp_striped_to_blockedN15benchmark_utils11custom_typeIffEELj256ELj1ELj100EEvPKT0_PKjPS4_.numbered_sgpr, 7
	.set _Z6kernelI23warp_striped_to_blockedN15benchmark_utils11custom_typeIffEELj256ELj1ELj100EEvPKT0_PKjPS4_.num_named_barrier, 0
	.set _Z6kernelI23warp_striped_to_blockedN15benchmark_utils11custom_typeIffEELj256ELj1ELj100EEvPKT0_PKjPS4_.private_seg_size, 0
	.set _Z6kernelI23warp_striped_to_blockedN15benchmark_utils11custom_typeIffEELj256ELj1ELj100EEvPKT0_PKjPS4_.uses_vcc, 0
	.set _Z6kernelI23warp_striped_to_blockedN15benchmark_utils11custom_typeIffEELj256ELj1ELj100EEvPKT0_PKjPS4_.uses_flat_scratch, 0
	.set _Z6kernelI23warp_striped_to_blockedN15benchmark_utils11custom_typeIffEELj256ELj1ELj100EEvPKT0_PKjPS4_.has_dyn_sized_stack, 0
	.set _Z6kernelI23warp_striped_to_blockedN15benchmark_utils11custom_typeIffEELj256ELj1ELj100EEvPKT0_PKjPS4_.has_recursion, 0
	.set _Z6kernelI23warp_striped_to_blockedN15benchmark_utils11custom_typeIffEELj256ELj1ELj100EEvPKT0_PKjPS4_.has_indirect_call, 0
	.section	.AMDGPU.csdata,"",@progbits
; Kernel info:
; codeLenInByte = 208
; TotalNumSgprs: 7
; NumVgprs: 8
; ScratchSize: 0
; MemoryBound: 0
; FloatMode: 240
; IeeeMode: 1
; LDSByteSize: 2048 bytes/workgroup (compile time only)
; SGPRBlocks: 0
; VGPRBlocks: 0
; NumSGPRsForWavesPerEU: 7
; NumVGPRsForWavesPerEU: 8
; NamedBarCnt: 0
; Occupancy: 16
; WaveLimiterHint : 0
; COMPUTE_PGM_RSRC2:SCRATCH_EN: 0
; COMPUTE_PGM_RSRC2:USER_SGPR: 2
; COMPUTE_PGM_RSRC2:TRAP_HANDLER: 0
; COMPUTE_PGM_RSRC2:TGID_X_EN: 1
; COMPUTE_PGM_RSRC2:TGID_Y_EN: 0
; COMPUTE_PGM_RSRC2:TGID_Z_EN: 0
; COMPUTE_PGM_RSRC2:TIDIG_COMP_CNT: 0
	.section	.text._Z6kernelI23warp_striped_to_blockedN15benchmark_utils11custom_typeIffEELj256ELj2ELj100EEvPKT0_PKjPS4_,"axG",@progbits,_Z6kernelI23warp_striped_to_blockedN15benchmark_utils11custom_typeIffEELj256ELj2ELj100EEvPKT0_PKjPS4_,comdat
	.protected	_Z6kernelI23warp_striped_to_blockedN15benchmark_utils11custom_typeIffEELj256ELj2ELj100EEvPKT0_PKjPS4_ ; -- Begin function _Z6kernelI23warp_striped_to_blockedN15benchmark_utils11custom_typeIffEELj256ELj2ELj100EEvPKT0_PKjPS4_
	.globl	_Z6kernelI23warp_striped_to_blockedN15benchmark_utils11custom_typeIffEELj256ELj2ELj100EEvPKT0_PKjPS4_
	.p2align	8
	.type	_Z6kernelI23warp_striped_to_blockedN15benchmark_utils11custom_typeIffEELj256ELj2ELj100EEvPKT0_PKjPS4_,@function
_Z6kernelI23warp_striped_to_blockedN15benchmark_utils11custom_typeIffEELj256ELj2ELj100EEvPKT0_PKjPS4_: ; @_Z6kernelI23warp_striped_to_blockedN15benchmark_utils11custom_typeIffEELj256ELj2ELj100EEvPKT0_PKjPS4_
; %bb.0:
	s_load_b64 s[4:5], s[0:1], 0x0
	s_bfe_u32 s6, ttmp6, 0x4000c
	s_and_b32 s2, ttmp6, 15
	s_add_co_i32 s6, s6, 1
	s_getreg_b32 s7, hwreg(HW_REG_IB_STS2, 6, 4)
	s_mul_i32 s6, ttmp9, s6
	v_mbcnt_lo_u32_b32 v8, -1, 0
	s_add_co_i32 s2, s2, s6
	s_cmp_eq_u32 s7, 0
	v_dual_lshlrev_b32 v1, 1, v0 :: v_dual_mov_b32 v3, 0
	s_cselect_b32 s2, ttmp9, s2
	s_mov_b32 s3, 0
	s_lshl_b32 s2, s2, 9
	s_delay_alu instid0(VALU_DEP_1)
	v_and_b32_e32 v9, 0x180, v1
	v_lshlrev_b32_e32 v2, 3, v8
	s_lshl_b64 s[2:3], s[2:3], 3
	s_wait_kmcnt 0x0
	s_add_nc_u64 s[4:5], s[4:5], s[2:3]
	s_delay_alu instid0(VALU_DEP_1) | instid1(SALU_CYCLE_1)
	v_add_nc_u64_e32 v[4:5], s[4:5], v[2:3]
	v_lshlrev_b32_e32 v2, 3, v9
	s_movk_i32 s4, 0x64
	s_delay_alu instid0(VALU_DEP_1)
	v_add_nc_u64_e32 v[6:7], v[4:5], v[2:3]
	s_clause 0x1
	global_load_b64 v[2:3], v[6:7], off
	global_load_b64 v[4:5], v[6:7], off offset:512
	s_wait_xcnt 0x0
	v_and_or_b32 v7, 0xc0, v0, v8
	v_or_b32_e32 v0, v8, v9
	v_dual_lshrrev_b32 v9, 2, v9 :: v_dual_bitop2_b32 v6, 64, v9 bitop3:0x54
	s_delay_alu instid0(VALU_DEP_3) | instskip(NEXT) | instid1(VALU_DEP_2)
	v_lshrrev_b16 v8, 1, v7
	v_dual_lshlrev_b32 v10, 3, v0 :: v_dual_lshrrev_b32 v6, 2, v6
	s_delay_alu instid0(VALU_DEP_2) | instskip(NEXT) | instid1(VALU_DEP_2)
	v_and_b32_e32 v8, 0x68, v8
	v_dual_add_nc_u32 v0, v9, v10 :: v_dual_add_nc_u32 v6, v6, v10
	s_delay_alu instid0(VALU_DEP_2)
	v_lshl_add_u32 v7, v7, 4, v8
.LBB109_1:                              ; =>This Inner Loop Header: Depth=1
	s_wait_loadcnt 0x1
	ds_store_b64 v0, v[2:3]
	s_wait_loadcnt 0x0
	ds_store_b64 v6, v[4:5] offset:512
	; wave barrier
	ds_load_2addr_b64 v[2:5], v7 offset1:1
	s_add_co_i32 s4, s4, -1
	s_wait_dscnt 0x0
	s_cmp_lg_u32 s4, 0
	s_barrier_signal -1
	s_barrier_wait -1
	s_cbranch_scc1 .LBB109_1
; %bb.2:
	s_load_b64 s[0:1], s[0:1], 0x10
	v_lshlrev_b32_e32 v0, 3, v1
	s_wait_kmcnt 0x0
	s_add_nc_u64 s[0:1], s[0:1], s[2:3]
	global_store_b128 v0, v[2:5], s[0:1]
	s_endpgm
	.section	.rodata,"a",@progbits
	.p2align	6, 0x0
	.amdhsa_kernel _Z6kernelI23warp_striped_to_blockedN15benchmark_utils11custom_typeIffEELj256ELj2ELj100EEvPKT0_PKjPS4_
		.amdhsa_group_segment_fixed_size 4224
		.amdhsa_private_segment_fixed_size 0
		.amdhsa_kernarg_size 24
		.amdhsa_user_sgpr_count 2
		.amdhsa_user_sgpr_dispatch_ptr 0
		.amdhsa_user_sgpr_queue_ptr 0
		.amdhsa_user_sgpr_kernarg_segment_ptr 1
		.amdhsa_user_sgpr_dispatch_id 0
		.amdhsa_user_sgpr_kernarg_preload_length 0
		.amdhsa_user_sgpr_kernarg_preload_offset 0
		.amdhsa_user_sgpr_private_segment_size 0
		.amdhsa_wavefront_size32 1
		.amdhsa_uses_dynamic_stack 0
		.amdhsa_enable_private_segment 0
		.amdhsa_system_sgpr_workgroup_id_x 1
		.amdhsa_system_sgpr_workgroup_id_y 0
		.amdhsa_system_sgpr_workgroup_id_z 0
		.amdhsa_system_sgpr_workgroup_info 0
		.amdhsa_system_vgpr_workitem_id 0
		.amdhsa_next_free_vgpr 11
		.amdhsa_next_free_sgpr 8
		.amdhsa_named_barrier_count 0
		.amdhsa_reserve_vcc 0
		.amdhsa_float_round_mode_32 0
		.amdhsa_float_round_mode_16_64 0
		.amdhsa_float_denorm_mode_32 3
		.amdhsa_float_denorm_mode_16_64 3
		.amdhsa_fp16_overflow 0
		.amdhsa_memory_ordered 1
		.amdhsa_forward_progress 1
		.amdhsa_inst_pref_size 3
		.amdhsa_round_robin_scheduling 0
		.amdhsa_exception_fp_ieee_invalid_op 0
		.amdhsa_exception_fp_denorm_src 0
		.amdhsa_exception_fp_ieee_div_zero 0
		.amdhsa_exception_fp_ieee_overflow 0
		.amdhsa_exception_fp_ieee_underflow 0
		.amdhsa_exception_fp_ieee_inexact 0
		.amdhsa_exception_int_div_zero 0
	.end_amdhsa_kernel
	.section	.text._Z6kernelI23warp_striped_to_blockedN15benchmark_utils11custom_typeIffEELj256ELj2ELj100EEvPKT0_PKjPS4_,"axG",@progbits,_Z6kernelI23warp_striped_to_blockedN15benchmark_utils11custom_typeIffEELj256ELj2ELj100EEvPKT0_PKjPS4_,comdat
.Lfunc_end109:
	.size	_Z6kernelI23warp_striped_to_blockedN15benchmark_utils11custom_typeIffEELj256ELj2ELj100EEvPKT0_PKjPS4_, .Lfunc_end109-_Z6kernelI23warp_striped_to_blockedN15benchmark_utils11custom_typeIffEELj256ELj2ELj100EEvPKT0_PKjPS4_
                                        ; -- End function
	.set _Z6kernelI23warp_striped_to_blockedN15benchmark_utils11custom_typeIffEELj256ELj2ELj100EEvPKT0_PKjPS4_.num_vgpr, 11
	.set _Z6kernelI23warp_striped_to_blockedN15benchmark_utils11custom_typeIffEELj256ELj2ELj100EEvPKT0_PKjPS4_.num_agpr, 0
	.set _Z6kernelI23warp_striped_to_blockedN15benchmark_utils11custom_typeIffEELj256ELj2ELj100EEvPKT0_PKjPS4_.numbered_sgpr, 8
	.set _Z6kernelI23warp_striped_to_blockedN15benchmark_utils11custom_typeIffEELj256ELj2ELj100EEvPKT0_PKjPS4_.num_named_barrier, 0
	.set _Z6kernelI23warp_striped_to_blockedN15benchmark_utils11custom_typeIffEELj256ELj2ELj100EEvPKT0_PKjPS4_.private_seg_size, 0
	.set _Z6kernelI23warp_striped_to_blockedN15benchmark_utils11custom_typeIffEELj256ELj2ELj100EEvPKT0_PKjPS4_.uses_vcc, 0
	.set _Z6kernelI23warp_striped_to_blockedN15benchmark_utils11custom_typeIffEELj256ELj2ELj100EEvPKT0_PKjPS4_.uses_flat_scratch, 0
	.set _Z6kernelI23warp_striped_to_blockedN15benchmark_utils11custom_typeIffEELj256ELj2ELj100EEvPKT0_PKjPS4_.has_dyn_sized_stack, 0
	.set _Z6kernelI23warp_striped_to_blockedN15benchmark_utils11custom_typeIffEELj256ELj2ELj100EEvPKT0_PKjPS4_.has_recursion, 0
	.set _Z6kernelI23warp_striped_to_blockedN15benchmark_utils11custom_typeIffEELj256ELj2ELj100EEvPKT0_PKjPS4_.has_indirect_call, 0
	.section	.AMDGPU.csdata,"",@progbits
; Kernel info:
; codeLenInByte = 336
; TotalNumSgprs: 8
; NumVgprs: 11
; ScratchSize: 0
; MemoryBound: 0
; FloatMode: 240
; IeeeMode: 1
; LDSByteSize: 4224 bytes/workgroup (compile time only)
; SGPRBlocks: 0
; VGPRBlocks: 0
; NumSGPRsForWavesPerEU: 8
; NumVGPRsForWavesPerEU: 11
; NamedBarCnt: 0
; Occupancy: 16
; WaveLimiterHint : 1
; COMPUTE_PGM_RSRC2:SCRATCH_EN: 0
; COMPUTE_PGM_RSRC2:USER_SGPR: 2
; COMPUTE_PGM_RSRC2:TRAP_HANDLER: 0
; COMPUTE_PGM_RSRC2:TGID_X_EN: 1
; COMPUTE_PGM_RSRC2:TGID_Y_EN: 0
; COMPUTE_PGM_RSRC2:TGID_Z_EN: 0
; COMPUTE_PGM_RSRC2:TIDIG_COMP_CNT: 0
	.section	.text._Z6kernelI23warp_striped_to_blockedN15benchmark_utils11custom_typeIffEELj256ELj3ELj100EEvPKT0_PKjPS4_,"axG",@progbits,_Z6kernelI23warp_striped_to_blockedN15benchmark_utils11custom_typeIffEELj256ELj3ELj100EEvPKT0_PKjPS4_,comdat
	.protected	_Z6kernelI23warp_striped_to_blockedN15benchmark_utils11custom_typeIffEELj256ELj3ELj100EEvPKT0_PKjPS4_ ; -- Begin function _Z6kernelI23warp_striped_to_blockedN15benchmark_utils11custom_typeIffEELj256ELj3ELj100EEvPKT0_PKjPS4_
	.globl	_Z6kernelI23warp_striped_to_blockedN15benchmark_utils11custom_typeIffEELj256ELj3ELj100EEvPKT0_PKjPS4_
	.p2align	8
	.type	_Z6kernelI23warp_striped_to_blockedN15benchmark_utils11custom_typeIffEELj256ELj3ELj100EEvPKT0_PKjPS4_,@function
_Z6kernelI23warp_striped_to_blockedN15benchmark_utils11custom_typeIffEELj256ELj3ELj100EEvPKT0_PKjPS4_: ; @_Z6kernelI23warp_striped_to_blockedN15benchmark_utils11custom_typeIffEELj256ELj3ELj100EEvPKT0_PKjPS4_
; %bb.0:
	s_load_b64 s[4:5], s[0:1], 0x0
	s_bfe_u32 s6, ttmp6, 0x4000c
	s_and_b32 s2, ttmp6, 15
	s_add_co_i32 s6, s6, 1
	s_getreg_b32 s7, hwreg(HW_REG_IB_STS2, 6, 4)
	s_mul_i32 s6, ttmp9, s6
	v_mbcnt_lo_u32_b32 v12, -1, 0
	s_add_co_i32 s2, s2, s6
	s_cmp_eq_u32 s7, 0
	v_and_b32_e32 v1, 0xc0, v0
	s_cselect_b32 s2, ttmp9, s2
	s_mov_b32 s3, 0
	s_mulk_i32 s2, 0x300
	v_dual_mov_b32 v9, 0 :: v_dual_lshlrev_b32 v8, 3, v12
	s_lshl_b64 s[2:3], s[2:3], 3
	v_mul_u32_u24_e32 v1, 3, v1
	s_delay_alu instid0(VALU_DEP_2) | instskip(SKIP_2) | instid1(VALU_DEP_2)
	v_mov_b32_e32 v5, v9
	s_wait_kmcnt 0x0
	s_add_nc_u64 s[4:5], s[4:5], s[2:3]
	v_lshlrev_b32_e32 v4, 3, v1
	v_add_nc_u64_e32 v[2:3], s[4:5], v[8:9]
	v_lshrrev_b32_e32 v1, 6, v0
	s_movk_i32 s4, 0x64
	s_delay_alu instid0(VALU_DEP_1) | instskip(NEXT) | instid1(VALU_DEP_3)
	v_mul_u32_u24_e32 v1, 0xc0, v1
	v_add_nc_u64_e32 v[10:11], v[2:3], v[4:5]
	s_clause 0x2
	global_load_b64 v[2:3], v[10:11], off
	global_load_b64 v[4:5], v[10:11], off offset:512
	global_load_b64 v[6:7], v[10:11], off offset:1024
	v_lshlrev_b32_e32 v9, 3, v1
	s_delay_alu instid0(VALU_DEP_1)
	v_or_b32_e32 v1, v8, v9
	v_mad_u32_u24 v8, v12, 24, v9
.LBB110_1:                              ; =>This Inner Loop Header: Depth=1
	s_wait_loadcnt 0x1
	ds_store_2addr_stride64_b64 v1, v[2:3], v[4:5] offset1:1
	s_wait_loadcnt 0x0
	ds_store_b64 v1, v[6:7] offset:1024
	; wave barrier
	ds_load_2addr_b64 v[2:5], v8 offset1:1
	ds_load_b64 v[6:7], v8 offset:16
	s_add_co_i32 s4, s4, -1
	s_wait_dscnt 0x0
	s_cmp_lg_u32 s4, 0
	s_barrier_signal -1
	s_barrier_wait -1
	s_cbranch_scc1 .LBB110_1
; %bb.2:
	s_load_b64 s[0:1], s[0:1], 0x10
	v_mul_u32_u24_e32 v0, 3, v0
	s_delay_alu instid0(VALU_DEP_1)
	v_lshlrev_b32_e32 v1, 3, v0
	s_wait_kmcnt 0x0
	s_add_nc_u64 s[0:1], s[0:1], s[2:3]
	s_clause 0x1
	global_store_b128 v1, v[2:5], s[0:1]
	global_store_b64 v0, v[6:7], s[0:1] offset:16 scale_offset
	s_endpgm
	.section	.rodata,"a",@progbits
	.p2align	6, 0x0
	.amdhsa_kernel _Z6kernelI23warp_striped_to_blockedN15benchmark_utils11custom_typeIffEELj256ELj3ELj100EEvPKT0_PKjPS4_
		.amdhsa_group_segment_fixed_size 6144
		.amdhsa_private_segment_fixed_size 0
		.amdhsa_kernarg_size 24
		.amdhsa_user_sgpr_count 2
		.amdhsa_user_sgpr_dispatch_ptr 0
		.amdhsa_user_sgpr_queue_ptr 0
		.amdhsa_user_sgpr_kernarg_segment_ptr 1
		.amdhsa_user_sgpr_dispatch_id 0
		.amdhsa_user_sgpr_kernarg_preload_length 0
		.amdhsa_user_sgpr_kernarg_preload_offset 0
		.amdhsa_user_sgpr_private_segment_size 0
		.amdhsa_wavefront_size32 1
		.amdhsa_uses_dynamic_stack 0
		.amdhsa_enable_private_segment 0
		.amdhsa_system_sgpr_workgroup_id_x 1
		.amdhsa_system_sgpr_workgroup_id_y 0
		.amdhsa_system_sgpr_workgroup_id_z 0
		.amdhsa_system_sgpr_workgroup_info 0
		.amdhsa_system_vgpr_workitem_id 0
		.amdhsa_next_free_vgpr 13
		.amdhsa_next_free_sgpr 8
		.amdhsa_named_barrier_count 0
		.amdhsa_reserve_vcc 0
		.amdhsa_float_round_mode_32 0
		.amdhsa_float_round_mode_16_64 0
		.amdhsa_float_denorm_mode_32 3
		.amdhsa_float_denorm_mode_16_64 3
		.amdhsa_fp16_overflow 0
		.amdhsa_memory_ordered 1
		.amdhsa_forward_progress 1
		.amdhsa_inst_pref_size 3
		.amdhsa_round_robin_scheduling 0
		.amdhsa_exception_fp_ieee_invalid_op 0
		.amdhsa_exception_fp_denorm_src 0
		.amdhsa_exception_fp_ieee_div_zero 0
		.amdhsa_exception_fp_ieee_overflow 0
		.amdhsa_exception_fp_ieee_underflow 0
		.amdhsa_exception_fp_ieee_inexact 0
		.amdhsa_exception_int_div_zero 0
	.end_amdhsa_kernel
	.section	.text._Z6kernelI23warp_striped_to_blockedN15benchmark_utils11custom_typeIffEELj256ELj3ELj100EEvPKT0_PKjPS4_,"axG",@progbits,_Z6kernelI23warp_striped_to_blockedN15benchmark_utils11custom_typeIffEELj256ELj3ELj100EEvPKT0_PKjPS4_,comdat
.Lfunc_end110:
	.size	_Z6kernelI23warp_striped_to_blockedN15benchmark_utils11custom_typeIffEELj256ELj3ELj100EEvPKT0_PKjPS4_, .Lfunc_end110-_Z6kernelI23warp_striped_to_blockedN15benchmark_utils11custom_typeIffEELj256ELj3ELj100EEvPKT0_PKjPS4_
                                        ; -- End function
	.set _Z6kernelI23warp_striped_to_blockedN15benchmark_utils11custom_typeIffEELj256ELj3ELj100EEvPKT0_PKjPS4_.num_vgpr, 13
	.set _Z6kernelI23warp_striped_to_blockedN15benchmark_utils11custom_typeIffEELj256ELj3ELj100EEvPKT0_PKjPS4_.num_agpr, 0
	.set _Z6kernelI23warp_striped_to_blockedN15benchmark_utils11custom_typeIffEELj256ELj3ELj100EEvPKT0_PKjPS4_.numbered_sgpr, 8
	.set _Z6kernelI23warp_striped_to_blockedN15benchmark_utils11custom_typeIffEELj256ELj3ELj100EEvPKT0_PKjPS4_.num_named_barrier, 0
	.set _Z6kernelI23warp_striped_to_blockedN15benchmark_utils11custom_typeIffEELj256ELj3ELj100EEvPKT0_PKjPS4_.private_seg_size, 0
	.set _Z6kernelI23warp_striped_to_blockedN15benchmark_utils11custom_typeIffEELj256ELj3ELj100EEvPKT0_PKjPS4_.uses_vcc, 0
	.set _Z6kernelI23warp_striped_to_blockedN15benchmark_utils11custom_typeIffEELj256ELj3ELj100EEvPKT0_PKjPS4_.uses_flat_scratch, 0
	.set _Z6kernelI23warp_striped_to_blockedN15benchmark_utils11custom_typeIffEELj256ELj3ELj100EEvPKT0_PKjPS4_.has_dyn_sized_stack, 0
	.set _Z6kernelI23warp_striped_to_blockedN15benchmark_utils11custom_typeIffEELj256ELj3ELj100EEvPKT0_PKjPS4_.has_recursion, 0
	.set _Z6kernelI23warp_striped_to_blockedN15benchmark_utils11custom_typeIffEELj256ELj3ELj100EEvPKT0_PKjPS4_.has_indirect_call, 0
	.section	.AMDGPU.csdata,"",@progbits
; Kernel info:
; codeLenInByte = 316
; TotalNumSgprs: 8
; NumVgprs: 13
; ScratchSize: 0
; MemoryBound: 0
; FloatMode: 240
; IeeeMode: 1
; LDSByteSize: 6144 bytes/workgroup (compile time only)
; SGPRBlocks: 0
; VGPRBlocks: 0
; NumSGPRsForWavesPerEU: 8
; NumVGPRsForWavesPerEU: 13
; NamedBarCnt: 0
; Occupancy: 16
; WaveLimiterHint : 1
; COMPUTE_PGM_RSRC2:SCRATCH_EN: 0
; COMPUTE_PGM_RSRC2:USER_SGPR: 2
; COMPUTE_PGM_RSRC2:TRAP_HANDLER: 0
; COMPUTE_PGM_RSRC2:TGID_X_EN: 1
; COMPUTE_PGM_RSRC2:TGID_Y_EN: 0
; COMPUTE_PGM_RSRC2:TGID_Z_EN: 0
; COMPUTE_PGM_RSRC2:TIDIG_COMP_CNT: 0
	.section	.text._Z6kernelI23warp_striped_to_blockedN15benchmark_utils11custom_typeIffEELj256ELj4ELj100EEvPKT0_PKjPS4_,"axG",@progbits,_Z6kernelI23warp_striped_to_blockedN15benchmark_utils11custom_typeIffEELj256ELj4ELj100EEvPKT0_PKjPS4_,comdat
	.protected	_Z6kernelI23warp_striped_to_blockedN15benchmark_utils11custom_typeIffEELj256ELj4ELj100EEvPKT0_PKjPS4_ ; -- Begin function _Z6kernelI23warp_striped_to_blockedN15benchmark_utils11custom_typeIffEELj256ELj4ELj100EEvPKT0_PKjPS4_
	.globl	_Z6kernelI23warp_striped_to_blockedN15benchmark_utils11custom_typeIffEELj256ELj4ELj100EEvPKT0_PKjPS4_
	.p2align	8
	.type	_Z6kernelI23warp_striped_to_blockedN15benchmark_utils11custom_typeIffEELj256ELj4ELj100EEvPKT0_PKjPS4_,@function
_Z6kernelI23warp_striped_to_blockedN15benchmark_utils11custom_typeIffEELj256ELj4ELj100EEvPKT0_PKjPS4_: ; @_Z6kernelI23warp_striped_to_blockedN15benchmark_utils11custom_typeIffEELj256ELj4ELj100EEvPKT0_PKjPS4_
; %bb.0:
	s_load_b64 s[4:5], s[0:1], 0x0
	s_bfe_u32 s6, ttmp6, 0x4000c
	s_and_b32 s2, ttmp6, 15
	s_add_co_i32 s6, s6, 1
	s_getreg_b32 s7, hwreg(HW_REG_IB_STS2, 6, 4)
	s_mul_i32 s6, ttmp9, s6
	v_mbcnt_lo_u32_b32 v12, -1, 0
	s_add_co_i32 s2, s2, s6
	s_cmp_eq_u32 s7, 0
	v_dual_lshlrev_b32 v1, 2, v0 :: v_dual_mov_b32 v3, 0
	s_cselect_b32 s2, ttmp9, s2
	s_mov_b32 s3, 0
	s_lshl_b32 s2, s2, 10
	s_delay_alu instid0(VALU_DEP_1) | instskip(SKIP_3) | instid1(VALU_DEP_3)
	v_and_b32_e32 v13, 0x300, v1
	v_lshlrev_b32_e32 v2, 3, v12
	s_lshl_b64 s[2:3], s[2:3], 3
	v_and_b32_e32 v0, 0xc0, v0
	v_or_b32_e32 v15, 0x80, v13
	s_wait_kmcnt 0x0
	s_add_nc_u64 s[4:5], s[4:5], s[2:3]
	s_delay_alu instid0(VALU_DEP_2) | instskip(SKIP_3) | instid1(VALU_DEP_1)
	v_bitop3_b32 v17, v12, 0xd8, v0 bitop3:0xc8
	v_add_nc_u64_e32 v[4:5], s[4:5], v[2:3]
	v_lshlrev_b32_e32 v2, 3, v13
	s_movk_i32 s4, 0x64
	v_add_nc_u64_e32 v[10:11], v[4:5], v[2:3]
	s_clause 0x3
	global_load_b64 v[2:3], v[10:11], off
	global_load_b64 v[4:5], v[10:11], off offset:512
	global_load_b64 v[6:7], v[10:11], off offset:1024
	;; [unrolled: 1-line block ×3, first 2 shown]
	s_wait_xcnt 0x0
	v_dual_lshrrev_b32 v11, 2, v13 :: v_dual_bitop2_b32 v10, v12, v13 bitop3:0x54
	v_or_b32_e32 v14, 64, v13
	v_or_b32_e32 v13, 0xc0, v13
	s_delay_alu instid0(VALU_DEP_3) | instskip(NEXT) | instid1(VALU_DEP_3)
	v_lshlrev_b32_e32 v16, 3, v10
	v_dual_lshrrev_b32 v10, 2, v14 :: v_dual_lshrrev_b32 v14, 2, v15
	s_delay_alu instid0(VALU_DEP_3) | instskip(NEXT) | instid1(VALU_DEP_2)
	v_dual_lshrrev_b32 v13, 2, v13 :: v_dual_bitop2_b32 v15, v12, v0 bitop3:0x54
	v_dual_add_nc_u32 v0, v11, v16 :: v_dual_add_nc_u32 v10, v10, v16
	s_delay_alu instid0(VALU_DEP_2) | instskip(NEXT) | instid1(VALU_DEP_3)
	v_dual_add_nc_u32 v11, v14, v16 :: v_dual_add_nc_u32 v12, v13, v16
	v_lshl_add_u32 v13, v15, 5, v17
.LBB111_1:                              ; =>This Inner Loop Header: Depth=1
	s_wait_loadcnt 0x3
	ds_store_b64 v0, v[2:3]
	s_wait_loadcnt 0x2
	ds_store_b64 v10, v[4:5] offset:512
	s_wait_loadcnt 0x1
	ds_store_b64 v11, v[6:7] offset:1024
	;; [unrolled: 2-line block ×3, first 2 shown]
	; wave barrier
	ds_load_2addr_b64 v[2:5], v13 offset1:1
	ds_load_2addr_b64 v[6:9], v13 offset0:2 offset1:3
	s_add_co_i32 s4, s4, -1
	s_wait_dscnt 0x0
	s_cmp_lg_u32 s4, 0
	s_barrier_signal -1
	s_barrier_wait -1
	s_cbranch_scc1 .LBB111_1
; %bb.2:
	s_load_b64 s[0:1], s[0:1], 0x10
	v_lshlrev_b32_e32 v0, 3, v1
	s_wait_kmcnt 0x0
	s_add_nc_u64 s[0:1], s[0:1], s[2:3]
	s_clause 0x1
	global_store_b128 v0, v[2:5], s[0:1]
	global_store_b128 v0, v[6:9], s[0:1] offset:16
	s_endpgm
	.section	.rodata,"a",@progbits
	.p2align	6, 0x0
	.amdhsa_kernel _Z6kernelI23warp_striped_to_blockedN15benchmark_utils11custom_typeIffEELj256ELj4ELj100EEvPKT0_PKjPS4_
		.amdhsa_group_segment_fixed_size 8448
		.amdhsa_private_segment_fixed_size 0
		.amdhsa_kernarg_size 24
		.amdhsa_user_sgpr_count 2
		.amdhsa_user_sgpr_dispatch_ptr 0
		.amdhsa_user_sgpr_queue_ptr 0
		.amdhsa_user_sgpr_kernarg_segment_ptr 1
		.amdhsa_user_sgpr_dispatch_id 0
		.amdhsa_user_sgpr_kernarg_preload_length 0
		.amdhsa_user_sgpr_kernarg_preload_offset 0
		.amdhsa_user_sgpr_private_segment_size 0
		.amdhsa_wavefront_size32 1
		.amdhsa_uses_dynamic_stack 0
		.amdhsa_enable_private_segment 0
		.amdhsa_system_sgpr_workgroup_id_x 1
		.amdhsa_system_sgpr_workgroup_id_y 0
		.amdhsa_system_sgpr_workgroup_id_z 0
		.amdhsa_system_sgpr_workgroup_info 0
		.amdhsa_system_vgpr_workitem_id 0
		.amdhsa_next_free_vgpr 18
		.amdhsa_next_free_sgpr 8
		.amdhsa_named_barrier_count 0
		.amdhsa_reserve_vcc 0
		.amdhsa_float_round_mode_32 0
		.amdhsa_float_round_mode_16_64 0
		.amdhsa_float_denorm_mode_32 3
		.amdhsa_float_denorm_mode_16_64 3
		.amdhsa_fp16_overflow 0
		.amdhsa_memory_ordered 1
		.amdhsa_forward_progress 1
		.amdhsa_inst_pref_size 4
		.amdhsa_round_robin_scheduling 0
		.amdhsa_exception_fp_ieee_invalid_op 0
		.amdhsa_exception_fp_denorm_src 0
		.amdhsa_exception_fp_ieee_div_zero 0
		.amdhsa_exception_fp_ieee_overflow 0
		.amdhsa_exception_fp_ieee_underflow 0
		.amdhsa_exception_fp_ieee_inexact 0
		.amdhsa_exception_int_div_zero 0
	.end_amdhsa_kernel
	.section	.text._Z6kernelI23warp_striped_to_blockedN15benchmark_utils11custom_typeIffEELj256ELj4ELj100EEvPKT0_PKjPS4_,"axG",@progbits,_Z6kernelI23warp_striped_to_blockedN15benchmark_utils11custom_typeIffEELj256ELj4ELj100EEvPKT0_PKjPS4_,comdat
.Lfunc_end111:
	.size	_Z6kernelI23warp_striped_to_blockedN15benchmark_utils11custom_typeIffEELj256ELj4ELj100EEvPKT0_PKjPS4_, .Lfunc_end111-_Z6kernelI23warp_striped_to_blockedN15benchmark_utils11custom_typeIffEELj256ELj4ELj100EEvPKT0_PKjPS4_
                                        ; -- End function
	.set _Z6kernelI23warp_striped_to_blockedN15benchmark_utils11custom_typeIffEELj256ELj4ELj100EEvPKT0_PKjPS4_.num_vgpr, 18
	.set _Z6kernelI23warp_striped_to_blockedN15benchmark_utils11custom_typeIffEELj256ELj4ELj100EEvPKT0_PKjPS4_.num_agpr, 0
	.set _Z6kernelI23warp_striped_to_blockedN15benchmark_utils11custom_typeIffEELj256ELj4ELj100EEvPKT0_PKjPS4_.numbered_sgpr, 8
	.set _Z6kernelI23warp_striped_to_blockedN15benchmark_utils11custom_typeIffEELj256ELj4ELj100EEvPKT0_PKjPS4_.num_named_barrier, 0
	.set _Z6kernelI23warp_striped_to_blockedN15benchmark_utils11custom_typeIffEELj256ELj4ELj100EEvPKT0_PKjPS4_.private_seg_size, 0
	.set _Z6kernelI23warp_striped_to_blockedN15benchmark_utils11custom_typeIffEELj256ELj4ELj100EEvPKT0_PKjPS4_.uses_vcc, 0
	.set _Z6kernelI23warp_striped_to_blockedN15benchmark_utils11custom_typeIffEELj256ELj4ELj100EEvPKT0_PKjPS4_.uses_flat_scratch, 0
	.set _Z6kernelI23warp_striped_to_blockedN15benchmark_utils11custom_typeIffEELj256ELj4ELj100EEvPKT0_PKjPS4_.has_dyn_sized_stack, 0
	.set _Z6kernelI23warp_striped_to_blockedN15benchmark_utils11custom_typeIffEELj256ELj4ELj100EEvPKT0_PKjPS4_.has_recursion, 0
	.set _Z6kernelI23warp_striped_to_blockedN15benchmark_utils11custom_typeIffEELj256ELj4ELj100EEvPKT0_PKjPS4_.has_indirect_call, 0
	.section	.AMDGPU.csdata,"",@progbits
; Kernel info:
; codeLenInByte = 440
; TotalNumSgprs: 8
; NumVgprs: 18
; ScratchSize: 0
; MemoryBound: 0
; FloatMode: 240
; IeeeMode: 1
; LDSByteSize: 8448 bytes/workgroup (compile time only)
; SGPRBlocks: 0
; VGPRBlocks: 1
; NumSGPRsForWavesPerEU: 8
; NumVGPRsForWavesPerEU: 18
; NamedBarCnt: 0
; Occupancy: 16
; WaveLimiterHint : 1
; COMPUTE_PGM_RSRC2:SCRATCH_EN: 0
; COMPUTE_PGM_RSRC2:USER_SGPR: 2
; COMPUTE_PGM_RSRC2:TRAP_HANDLER: 0
; COMPUTE_PGM_RSRC2:TGID_X_EN: 1
; COMPUTE_PGM_RSRC2:TGID_Y_EN: 0
; COMPUTE_PGM_RSRC2:TGID_Z_EN: 0
; COMPUTE_PGM_RSRC2:TIDIG_COMP_CNT: 0
	.section	.text._Z6kernelI23warp_striped_to_blockedN15benchmark_utils11custom_typeIffEELj256ELj7ELj100EEvPKT0_PKjPS4_,"axG",@progbits,_Z6kernelI23warp_striped_to_blockedN15benchmark_utils11custom_typeIffEELj256ELj7ELj100EEvPKT0_PKjPS4_,comdat
	.protected	_Z6kernelI23warp_striped_to_blockedN15benchmark_utils11custom_typeIffEELj256ELj7ELj100EEvPKT0_PKjPS4_ ; -- Begin function _Z6kernelI23warp_striped_to_blockedN15benchmark_utils11custom_typeIffEELj256ELj7ELj100EEvPKT0_PKjPS4_
	.globl	_Z6kernelI23warp_striped_to_blockedN15benchmark_utils11custom_typeIffEELj256ELj7ELj100EEvPKT0_PKjPS4_
	.p2align	8
	.type	_Z6kernelI23warp_striped_to_blockedN15benchmark_utils11custom_typeIffEELj256ELj7ELj100EEvPKT0_PKjPS4_,@function
_Z6kernelI23warp_striped_to_blockedN15benchmark_utils11custom_typeIffEELj256ELj7ELj100EEvPKT0_PKjPS4_: ; @_Z6kernelI23warp_striped_to_blockedN15benchmark_utils11custom_typeIffEELj256ELj7ELj100EEvPKT0_PKjPS4_
; %bb.0:
	s_load_b64 s[4:5], s[0:1], 0x0
	s_bfe_u32 s6, ttmp6, 0x4000c
	s_and_b32 s2, ttmp6, 15
	s_add_co_i32 s6, s6, 1
	s_getreg_b32 s7, hwreg(HW_REG_IB_STS2, 6, 4)
	s_mul_i32 s6, ttmp9, s6
	v_mbcnt_lo_u32_b32 v20, -1, 0
	s_add_co_i32 s2, s2, s6
	s_cmp_eq_u32 s7, 0
	v_and_b32_e32 v1, 0xc0, v0
	s_cselect_b32 s2, ttmp9, s2
	s_mov_b32 s3, 0
	s_mulk_i32 s2, 0x700
	v_dual_mov_b32 v17, 0 :: v_dual_lshlrev_b32 v16, 3, v20
	s_lshl_b64 s[2:3], s[2:3], 3
	v_mul_u32_u24_e32 v1, 7, v1
	s_delay_alu instid0(VALU_DEP_2) | instskip(SKIP_2) | instid1(VALU_DEP_2)
	v_mov_b32_e32 v5, v17
	s_wait_kmcnt 0x0
	s_add_nc_u64 s[4:5], s[4:5], s[2:3]
	v_lshlrev_b32_e32 v4, 3, v1
	v_add_nc_u64_e32 v[2:3], s[4:5], v[16:17]
	v_lshrrev_b32_e32 v1, 6, v0
	s_movk_i32 s4, 0x64
	s_delay_alu instid0(VALU_DEP_1) | instskip(NEXT) | instid1(VALU_DEP_3)
	v_mul_u32_u24_e32 v1, 0x1c0, v1
	v_add_nc_u64_e32 v[18:19], v[2:3], v[4:5]
	s_clause 0x6
	global_load_b64 v[2:3], v[18:19], off
	global_load_b64 v[4:5], v[18:19], off offset:512
	global_load_b64 v[6:7], v[18:19], off offset:1024
	global_load_b64 v[8:9], v[18:19], off offset:1536
	global_load_b64 v[10:11], v[18:19], off offset:2048
	global_load_b64 v[12:13], v[18:19], off offset:2560
	global_load_b64 v[14:15], v[18:19], off offset:3072
	v_lshlrev_b32_e32 v17, 3, v1
	s_delay_alu instid0(VALU_DEP_1)
	v_or_b32_e32 v1, v16, v17
	v_mad_u32_u24 v16, v20, 56, v17
.LBB112_1:                              ; =>This Inner Loop Header: Depth=1
	s_wait_loadcnt 0x5
	ds_store_2addr_stride64_b64 v1, v[2:3], v[4:5] offset1:1
	s_wait_loadcnt 0x3
	ds_store_2addr_stride64_b64 v1, v[6:7], v[8:9] offset0:2 offset1:3
	s_wait_loadcnt 0x1
	ds_store_2addr_stride64_b64 v1, v[10:11], v[12:13] offset0:4 offset1:5
	s_wait_loadcnt 0x0
	ds_store_b64 v1, v[14:15] offset:3072
	; wave barrier
	ds_load_2addr_b64 v[2:5], v16 offset1:1
	ds_load_2addr_b64 v[6:9], v16 offset0:2 offset1:3
	ds_load_2addr_b64 v[10:13], v16 offset0:4 offset1:5
	ds_load_b64 v[14:15], v16 offset:48
	s_add_co_i32 s4, s4, -1
	s_wait_dscnt 0x0
	s_cmp_lg_u32 s4, 0
	s_barrier_signal -1
	s_barrier_wait -1
	s_cbranch_scc1 .LBB112_1
; %bb.2:
	s_load_b64 s[0:1], s[0:1], 0x10
	v_mul_u32_u24_e32 v0, 7, v0
	s_delay_alu instid0(VALU_DEP_1)
	v_lshlrev_b32_e32 v1, 3, v0
	s_wait_kmcnt 0x0
	s_add_nc_u64 s[0:1], s[0:1], s[2:3]
	s_clause 0x3
	global_store_b128 v1, v[6:9], s[0:1] offset:16
	global_store_b128 v1, v[10:13], s[0:1] offset:32
	global_store_b128 v1, v[2:5], s[0:1]
	global_store_b64 v0, v[14:15], s[0:1] offset:48 scale_offset
	s_endpgm
	.section	.rodata,"a",@progbits
	.p2align	6, 0x0
	.amdhsa_kernel _Z6kernelI23warp_striped_to_blockedN15benchmark_utils11custom_typeIffEELj256ELj7ELj100EEvPKT0_PKjPS4_
		.amdhsa_group_segment_fixed_size 14336
		.amdhsa_private_segment_fixed_size 0
		.amdhsa_kernarg_size 24
		.amdhsa_user_sgpr_count 2
		.amdhsa_user_sgpr_dispatch_ptr 0
		.amdhsa_user_sgpr_queue_ptr 0
		.amdhsa_user_sgpr_kernarg_segment_ptr 1
		.amdhsa_user_sgpr_dispatch_id 0
		.amdhsa_user_sgpr_kernarg_preload_length 0
		.amdhsa_user_sgpr_kernarg_preload_offset 0
		.amdhsa_user_sgpr_private_segment_size 0
		.amdhsa_wavefront_size32 1
		.amdhsa_uses_dynamic_stack 0
		.amdhsa_enable_private_segment 0
		.amdhsa_system_sgpr_workgroup_id_x 1
		.amdhsa_system_sgpr_workgroup_id_y 0
		.amdhsa_system_sgpr_workgroup_id_z 0
		.amdhsa_system_sgpr_workgroup_info 0
		.amdhsa_system_vgpr_workitem_id 0
		.amdhsa_next_free_vgpr 21
		.amdhsa_next_free_sgpr 8
		.amdhsa_named_barrier_count 0
		.amdhsa_reserve_vcc 0
		.amdhsa_float_round_mode_32 0
		.amdhsa_float_round_mode_16_64 0
		.amdhsa_float_denorm_mode_32 3
		.amdhsa_float_denorm_mode_16_64 3
		.amdhsa_fp16_overflow 0
		.amdhsa_memory_ordered 1
		.amdhsa_forward_progress 1
		.amdhsa_inst_pref_size 4
		.amdhsa_round_robin_scheduling 0
		.amdhsa_exception_fp_ieee_invalid_op 0
		.amdhsa_exception_fp_denorm_src 0
		.amdhsa_exception_fp_ieee_div_zero 0
		.amdhsa_exception_fp_ieee_overflow 0
		.amdhsa_exception_fp_ieee_underflow 0
		.amdhsa_exception_fp_ieee_inexact 0
		.amdhsa_exception_int_div_zero 0
	.end_amdhsa_kernel
	.section	.text._Z6kernelI23warp_striped_to_blockedN15benchmark_utils11custom_typeIffEELj256ELj7ELj100EEvPKT0_PKjPS4_,"axG",@progbits,_Z6kernelI23warp_striped_to_blockedN15benchmark_utils11custom_typeIffEELj256ELj7ELj100EEvPKT0_PKjPS4_,comdat
.Lfunc_end112:
	.size	_Z6kernelI23warp_striped_to_blockedN15benchmark_utils11custom_typeIffEELj256ELj7ELj100EEvPKT0_PKjPS4_, .Lfunc_end112-_Z6kernelI23warp_striped_to_blockedN15benchmark_utils11custom_typeIffEELj256ELj7ELj100EEvPKT0_PKjPS4_
                                        ; -- End function
	.set _Z6kernelI23warp_striped_to_blockedN15benchmark_utils11custom_typeIffEELj256ELj7ELj100EEvPKT0_PKjPS4_.num_vgpr, 21
	.set _Z6kernelI23warp_striped_to_blockedN15benchmark_utils11custom_typeIffEELj256ELj7ELj100EEvPKT0_PKjPS4_.num_agpr, 0
	.set _Z6kernelI23warp_striped_to_blockedN15benchmark_utils11custom_typeIffEELj256ELj7ELj100EEvPKT0_PKjPS4_.numbered_sgpr, 8
	.set _Z6kernelI23warp_striped_to_blockedN15benchmark_utils11custom_typeIffEELj256ELj7ELj100EEvPKT0_PKjPS4_.num_named_barrier, 0
	.set _Z6kernelI23warp_striped_to_blockedN15benchmark_utils11custom_typeIffEELj256ELj7ELj100EEvPKT0_PKjPS4_.private_seg_size, 0
	.set _Z6kernelI23warp_striped_to_blockedN15benchmark_utils11custom_typeIffEELj256ELj7ELj100EEvPKT0_PKjPS4_.uses_vcc, 0
	.set _Z6kernelI23warp_striped_to_blockedN15benchmark_utils11custom_typeIffEELj256ELj7ELj100EEvPKT0_PKjPS4_.uses_flat_scratch, 0
	.set _Z6kernelI23warp_striped_to_blockedN15benchmark_utils11custom_typeIffEELj256ELj7ELj100EEvPKT0_PKjPS4_.has_dyn_sized_stack, 0
	.set _Z6kernelI23warp_striped_to_blockedN15benchmark_utils11custom_typeIffEELj256ELj7ELj100EEvPKT0_PKjPS4_.has_recursion, 0
	.set _Z6kernelI23warp_striped_to_blockedN15benchmark_utils11custom_typeIffEELj256ELj7ELj100EEvPKT0_PKjPS4_.has_indirect_call, 0
	.section	.AMDGPU.csdata,"",@progbits
; Kernel info:
; codeLenInByte = 428
; TotalNumSgprs: 8
; NumVgprs: 21
; ScratchSize: 0
; MemoryBound: 0
; FloatMode: 240
; IeeeMode: 1
; LDSByteSize: 14336 bytes/workgroup (compile time only)
; SGPRBlocks: 0
; VGPRBlocks: 1
; NumSGPRsForWavesPerEU: 8
; NumVGPRsForWavesPerEU: 21
; NamedBarCnt: 0
; Occupancy: 16
; WaveLimiterHint : 1
; COMPUTE_PGM_RSRC2:SCRATCH_EN: 0
; COMPUTE_PGM_RSRC2:USER_SGPR: 2
; COMPUTE_PGM_RSRC2:TRAP_HANDLER: 0
; COMPUTE_PGM_RSRC2:TGID_X_EN: 1
; COMPUTE_PGM_RSRC2:TGID_Y_EN: 0
; COMPUTE_PGM_RSRC2:TGID_Z_EN: 0
; COMPUTE_PGM_RSRC2:TIDIG_COMP_CNT: 0
	.section	.text._Z6kernelI23warp_striped_to_blockedN15benchmark_utils11custom_typeIffEELj256ELj8ELj100EEvPKT0_PKjPS4_,"axG",@progbits,_Z6kernelI23warp_striped_to_blockedN15benchmark_utils11custom_typeIffEELj256ELj8ELj100EEvPKT0_PKjPS4_,comdat
	.protected	_Z6kernelI23warp_striped_to_blockedN15benchmark_utils11custom_typeIffEELj256ELj8ELj100EEvPKT0_PKjPS4_ ; -- Begin function _Z6kernelI23warp_striped_to_blockedN15benchmark_utils11custom_typeIffEELj256ELj8ELj100EEvPKT0_PKjPS4_
	.globl	_Z6kernelI23warp_striped_to_blockedN15benchmark_utils11custom_typeIffEELj256ELj8ELj100EEvPKT0_PKjPS4_
	.p2align	8
	.type	_Z6kernelI23warp_striped_to_blockedN15benchmark_utils11custom_typeIffEELj256ELj8ELj100EEvPKT0_PKjPS4_,@function
_Z6kernelI23warp_striped_to_blockedN15benchmark_utils11custom_typeIffEELj256ELj8ELj100EEvPKT0_PKjPS4_: ; @_Z6kernelI23warp_striped_to_blockedN15benchmark_utils11custom_typeIffEELj256ELj8ELj100EEvPKT0_PKjPS4_
; %bb.0:
	s_load_b64 s[4:5], s[0:1], 0x0
	s_bfe_u32 s6, ttmp6, 0x4000c
	s_and_b32 s2, ttmp6, 15
	s_add_co_i32 s6, s6, 1
	s_getreg_b32 s7, hwreg(HW_REG_IB_STS2, 6, 4)
	s_mul_i32 s6, ttmp9, s6
	v_mbcnt_lo_u32_b32 v22, -1, 0
	s_add_co_i32 s2, s2, s6
	s_cmp_eq_u32 s7, 0
	v_dual_lshlrev_b32 v1, 3, v0 :: v_dual_mov_b32 v3, 0
	s_cselect_b32 s2, ttmp9, s2
	s_mov_b32 s3, 0
	s_lshl_b32 s2, s2, 11
	s_delay_alu instid0(VALU_DEP_1) | instskip(SKIP_3) | instid1(VALU_DEP_3)
	v_and_b32_e32 v23, 0x600, v1
	v_lshlrev_b32_e32 v2, 3, v22
	s_lshl_b64 s[2:3], s[2:3], 3
	v_and_or_b32 v26, 0xc0, v0, v22
	v_or_b32_e32 v20, 0x80, v23
	s_wait_kmcnt 0x0
	s_add_nc_u64 s[4:5], s[4:5], s[2:3]
	v_or_b32_e32 v21, 0xc0, v23
	v_add_nc_u64_e32 v[4:5], s[4:5], v[2:3]
	v_lshlrev_b32_e32 v2, 3, v23
	v_or_b32_e32 v0, 0x100, v23
	s_delay_alu instid0(VALU_DEP_4)
	v_dual_lshlrev_b32 v27, 1, v26 :: v_dual_lshrrev_b32 v21, 2, v21
	s_movk_i32 s4, 0x64
	v_lshrrev_b32_e32 v20, 2, v20
	v_add_nc_u64_e32 v[18:19], v[4:5], v[2:3]
	s_clause 0x7
	global_load_b64 v[2:3], v[18:19], off
	global_load_b64 v[4:5], v[18:19], off offset:512
	global_load_b64 v[6:7], v[18:19], off offset:1024
	;; [unrolled: 1-line block ×7, first 2 shown]
	s_wait_xcnt 0x0
	v_or_b32_e32 v18, v22, v23
	v_dual_lshrrev_b32 v24, 2, v23 :: v_dual_bitop2_b32 v19, 64, v23 bitop3:0x54
	v_or_b32_e32 v22, 0x140, v23
	s_delay_alu instid0(VALU_DEP_3) | instskip(NEXT) | instid1(VALU_DEP_3)
	v_dual_lshrrev_b32 v0, 2, v0 :: v_dual_lshlrev_b32 v25, 3, v18
	v_lshrrev_b32_e32 v19, 2, v19
	v_and_b32_e32 v27, 0x1b8, v27
	s_delay_alu instid0(VALU_DEP_3) | instskip(NEXT) | instid1(VALU_DEP_3)
	v_dual_lshrrev_b32 v22, 2, v22 :: v_dual_add_nc_u32 v18, v24, v25
	v_add_nc_u32_e32 v19, v19, v25
	v_or_b32_e32 v24, 0x180, v23
	v_or_b32_e32 v23, 0x1c0, v23
	v_dual_add_nc_u32 v20, v20, v25 :: v_dual_add_nc_u32 v21, v21, v25
	v_dual_add_nc_u32 v0, v0, v25 :: v_dual_add_nc_u32 v22, v22, v25
	s_delay_alu instid0(VALU_DEP_3) | instskip(NEXT) | instid1(VALU_DEP_1)
	v_dual_lshrrev_b32 v24, 2, v24 :: v_dual_lshrrev_b32 v28, 2, v23
	v_add_nc_u32_e32 v23, v24, v25
	s_delay_alu instid0(VALU_DEP_2)
	v_add_nc_u32_e32 v24, v28, v25
	v_lshl_add_u32 v25, v26, 6, v27
.LBB113_1:                              ; =>This Inner Loop Header: Depth=1
	s_wait_loadcnt 0x7
	ds_store_b64 v18, v[2:3]
	s_wait_loadcnt 0x6
	ds_store_b64 v19, v[4:5] offset:512
	s_wait_loadcnt 0x5
	ds_store_b64 v20, v[6:7] offset:1024
	;; [unrolled: 2-line block ×7, first 2 shown]
	; wave barrier
	ds_load_2addr_b64 v[2:5], v25 offset1:1
	ds_load_2addr_b64 v[6:9], v25 offset0:2 offset1:3
	ds_load_2addr_b64 v[10:13], v25 offset0:4 offset1:5
	;; [unrolled: 1-line block ×3, first 2 shown]
	s_add_co_i32 s4, s4, -1
	s_wait_dscnt 0x0
	s_cmp_lg_u32 s4, 0
	s_barrier_signal -1
	s_barrier_wait -1
	s_cbranch_scc1 .LBB113_1
; %bb.2:
	s_load_b64 s[0:1], s[0:1], 0x10
	v_lshlrev_b32_e32 v0, 3, v1
	s_wait_kmcnt 0x0
	s_add_nc_u64 s[0:1], s[0:1], s[2:3]
	s_clause 0x3
	global_store_b128 v0, v[2:5], s[0:1]
	global_store_b128 v0, v[6:9], s[0:1] offset:16
	global_store_b128 v0, v[10:13], s[0:1] offset:32
	;; [unrolled: 1-line block ×3, first 2 shown]
	s_endpgm
	.section	.rodata,"a",@progbits
	.p2align	6, 0x0
	.amdhsa_kernel _Z6kernelI23warp_striped_to_blockedN15benchmark_utils11custom_typeIffEELj256ELj8ELj100EEvPKT0_PKjPS4_
		.amdhsa_group_segment_fixed_size 16896
		.amdhsa_private_segment_fixed_size 0
		.amdhsa_kernarg_size 24
		.amdhsa_user_sgpr_count 2
		.amdhsa_user_sgpr_dispatch_ptr 0
		.amdhsa_user_sgpr_queue_ptr 0
		.amdhsa_user_sgpr_kernarg_segment_ptr 1
		.amdhsa_user_sgpr_dispatch_id 0
		.amdhsa_user_sgpr_kernarg_preload_length 0
		.amdhsa_user_sgpr_kernarg_preload_offset 0
		.amdhsa_user_sgpr_private_segment_size 0
		.amdhsa_wavefront_size32 1
		.amdhsa_uses_dynamic_stack 0
		.amdhsa_enable_private_segment 0
		.amdhsa_system_sgpr_workgroup_id_x 1
		.amdhsa_system_sgpr_workgroup_id_y 0
		.amdhsa_system_sgpr_workgroup_id_z 0
		.amdhsa_system_sgpr_workgroup_info 0
		.amdhsa_system_vgpr_workitem_id 0
		.amdhsa_next_free_vgpr 29
		.amdhsa_next_free_sgpr 8
		.amdhsa_named_barrier_count 0
		.amdhsa_reserve_vcc 0
		.amdhsa_float_round_mode_32 0
		.amdhsa_float_round_mode_16_64 0
		.amdhsa_float_denorm_mode_32 3
		.amdhsa_float_denorm_mode_16_64 3
		.amdhsa_fp16_overflow 0
		.amdhsa_memory_ordered 1
		.amdhsa_forward_progress 1
		.amdhsa_inst_pref_size 6
		.amdhsa_round_robin_scheduling 0
		.amdhsa_exception_fp_ieee_invalid_op 0
		.amdhsa_exception_fp_denorm_src 0
		.amdhsa_exception_fp_ieee_div_zero 0
		.amdhsa_exception_fp_ieee_overflow 0
		.amdhsa_exception_fp_ieee_underflow 0
		.amdhsa_exception_fp_ieee_inexact 0
		.amdhsa_exception_int_div_zero 0
	.end_amdhsa_kernel
	.section	.text._Z6kernelI23warp_striped_to_blockedN15benchmark_utils11custom_typeIffEELj256ELj8ELj100EEvPKT0_PKjPS4_,"axG",@progbits,_Z6kernelI23warp_striped_to_blockedN15benchmark_utils11custom_typeIffEELj256ELj8ELj100EEvPKT0_PKjPS4_,comdat
.Lfunc_end113:
	.size	_Z6kernelI23warp_striped_to_blockedN15benchmark_utils11custom_typeIffEELj256ELj8ELj100EEvPKT0_PKjPS4_, .Lfunc_end113-_Z6kernelI23warp_striped_to_blockedN15benchmark_utils11custom_typeIffEELj256ELj8ELj100EEvPKT0_PKjPS4_
                                        ; -- End function
	.set _Z6kernelI23warp_striped_to_blockedN15benchmark_utils11custom_typeIffEELj256ELj8ELj100EEvPKT0_PKjPS4_.num_vgpr, 29
	.set _Z6kernelI23warp_striped_to_blockedN15benchmark_utils11custom_typeIffEELj256ELj8ELj100EEvPKT0_PKjPS4_.num_agpr, 0
	.set _Z6kernelI23warp_striped_to_blockedN15benchmark_utils11custom_typeIffEELj256ELj8ELj100EEvPKT0_PKjPS4_.numbered_sgpr, 8
	.set _Z6kernelI23warp_striped_to_blockedN15benchmark_utils11custom_typeIffEELj256ELj8ELj100EEvPKT0_PKjPS4_.num_named_barrier, 0
	.set _Z6kernelI23warp_striped_to_blockedN15benchmark_utils11custom_typeIffEELj256ELj8ELj100EEvPKT0_PKjPS4_.private_seg_size, 0
	.set _Z6kernelI23warp_striped_to_blockedN15benchmark_utils11custom_typeIffEELj256ELj8ELj100EEvPKT0_PKjPS4_.uses_vcc, 0
	.set _Z6kernelI23warp_striped_to_blockedN15benchmark_utils11custom_typeIffEELj256ELj8ELj100EEvPKT0_PKjPS4_.uses_flat_scratch, 0
	.set _Z6kernelI23warp_striped_to_blockedN15benchmark_utils11custom_typeIffEELj256ELj8ELj100EEvPKT0_PKjPS4_.has_dyn_sized_stack, 0
	.set _Z6kernelI23warp_striped_to_blockedN15benchmark_utils11custom_typeIffEELj256ELj8ELj100EEvPKT0_PKjPS4_.has_recursion, 0
	.set _Z6kernelI23warp_striped_to_blockedN15benchmark_utils11custom_typeIffEELj256ELj8ELj100EEvPKT0_PKjPS4_.has_indirect_call, 0
	.section	.AMDGPU.csdata,"",@progbits
; Kernel info:
; codeLenInByte = 652
; TotalNumSgprs: 8
; NumVgprs: 29
; ScratchSize: 0
; MemoryBound: 0
; FloatMode: 240
; IeeeMode: 1
; LDSByteSize: 16896 bytes/workgroup (compile time only)
; SGPRBlocks: 0
; VGPRBlocks: 1
; NumSGPRsForWavesPerEU: 8
; NumVGPRsForWavesPerEU: 29
; NamedBarCnt: 0
; Occupancy: 16
; WaveLimiterHint : 1
; COMPUTE_PGM_RSRC2:SCRATCH_EN: 0
; COMPUTE_PGM_RSRC2:USER_SGPR: 2
; COMPUTE_PGM_RSRC2:TRAP_HANDLER: 0
; COMPUTE_PGM_RSRC2:TGID_X_EN: 1
; COMPUTE_PGM_RSRC2:TGID_Y_EN: 0
; COMPUTE_PGM_RSRC2:TGID_Z_EN: 0
; COMPUTE_PGM_RSRC2:TIDIG_COMP_CNT: 0
	.section	.text._Z6kernelI23warp_striped_to_blockedN15benchmark_utils11custom_typeIddEELj256ELj1ELj100EEvPKT0_PKjPS4_,"axG",@progbits,_Z6kernelI23warp_striped_to_blockedN15benchmark_utils11custom_typeIddEELj256ELj1ELj100EEvPKT0_PKjPS4_,comdat
	.protected	_Z6kernelI23warp_striped_to_blockedN15benchmark_utils11custom_typeIddEELj256ELj1ELj100EEvPKT0_PKjPS4_ ; -- Begin function _Z6kernelI23warp_striped_to_blockedN15benchmark_utils11custom_typeIddEELj256ELj1ELj100EEvPKT0_PKjPS4_
	.globl	_Z6kernelI23warp_striped_to_blockedN15benchmark_utils11custom_typeIddEELj256ELj1ELj100EEvPKT0_PKjPS4_
	.p2align	8
	.type	_Z6kernelI23warp_striped_to_blockedN15benchmark_utils11custom_typeIddEELj256ELj1ELj100EEvPKT0_PKjPS4_,@function
_Z6kernelI23warp_striped_to_blockedN15benchmark_utils11custom_typeIddEELj256ELj1ELj100EEvPKT0_PKjPS4_: ; @_Z6kernelI23warp_striped_to_blockedN15benchmark_utils11custom_typeIddEELj256ELj1ELj100EEvPKT0_PKjPS4_
; %bb.0:
	s_load_b64 s[4:5], s[0:1], 0x0
	s_bfe_u32 s2, ttmp6, 0x4000c
	s_and_b32 s3, ttmp6, 15
	s_add_co_i32 s2, s2, 1
	s_getreg_b32 s6, hwreg(HW_REG_IB_STS2, 6, 4)
	s_mul_i32 s2, ttmp9, s2
	v_mbcnt_lo_u32_b32 v1, -1, 0
	s_add_co_i32 s3, s3, s2
	s_cmp_eq_u32 s6, 0
	v_mov_b32_e32 v7, 0
	s_cselect_b32 s2, ttmp9, s3
	s_mov_b32 s3, 0
	s_lshl_b32 s2, s2, 8
	v_lshlrev_b32_e32 v6, 4, v1
	s_lshl_b64 s[2:3], s[2:3], 4
	v_and_b32_e32 v1, 0xc0, v0
	s_delay_alu instid0(VALU_DEP_1) | instskip(SKIP_2) | instid1(SALU_CYCLE_1)
	v_dual_mov_b32 v9, v7 :: v_dual_lshlrev_b32 v8, 4, v1
	s_wait_kmcnt 0x0
	s_add_nc_u64 s[4:5], s[4:5], s[2:3]
	v_add_nc_u64_e32 v[2:3], s[4:5], v[6:7]
	s_movk_i32 s4, 0x64
	v_or_b32_e32 v1, v6, v8
	s_delay_alu instid0(VALU_DEP_2)
	v_add_nc_u64_e32 v[2:3], v[2:3], v[8:9]
	global_load_b128 v[2:5], v[2:3], off
.LBB114_1:                              ; =>This Inner Loop Header: Depth=1
	s_wait_loadcnt 0x0
	ds_store_b128 v1, v[2:5]
	; wave barrier
	ds_load_b128 v[2:5], v1
	s_add_co_i32 s4, s4, -1
	s_wait_dscnt 0x0
	s_cmp_lg_u32 s4, 0
	s_barrier_signal -1
	s_barrier_wait -1
	s_cbranch_scc1 .LBB114_1
; %bb.2:
	s_load_b64 s[0:1], s[0:1], 0x10
	s_wait_kmcnt 0x0
	s_add_nc_u64 s[0:1], s[0:1], s[2:3]
	global_store_b128 v0, v[2:5], s[0:1] scale_offset
	s_endpgm
	.section	.rodata,"a",@progbits
	.p2align	6, 0x0
	.amdhsa_kernel _Z6kernelI23warp_striped_to_blockedN15benchmark_utils11custom_typeIddEELj256ELj1ELj100EEvPKT0_PKjPS4_
		.amdhsa_group_segment_fixed_size 4096
		.amdhsa_private_segment_fixed_size 0
		.amdhsa_kernarg_size 24
		.amdhsa_user_sgpr_count 2
		.amdhsa_user_sgpr_dispatch_ptr 0
		.amdhsa_user_sgpr_queue_ptr 0
		.amdhsa_user_sgpr_kernarg_segment_ptr 1
		.amdhsa_user_sgpr_dispatch_id 0
		.amdhsa_user_sgpr_kernarg_preload_length 0
		.amdhsa_user_sgpr_kernarg_preload_offset 0
		.amdhsa_user_sgpr_private_segment_size 0
		.amdhsa_wavefront_size32 1
		.amdhsa_uses_dynamic_stack 0
		.amdhsa_enable_private_segment 0
		.amdhsa_system_sgpr_workgroup_id_x 1
		.amdhsa_system_sgpr_workgroup_id_y 0
		.amdhsa_system_sgpr_workgroup_id_z 0
		.amdhsa_system_sgpr_workgroup_info 0
		.amdhsa_system_vgpr_workitem_id 0
		.amdhsa_next_free_vgpr 10
		.amdhsa_next_free_sgpr 7
		.amdhsa_named_barrier_count 0
		.amdhsa_reserve_vcc 0
		.amdhsa_float_round_mode_32 0
		.amdhsa_float_round_mode_16_64 0
		.amdhsa_float_denorm_mode_32 3
		.amdhsa_float_denorm_mode_16_64 3
		.amdhsa_fp16_overflow 0
		.amdhsa_memory_ordered 1
		.amdhsa_forward_progress 1
		.amdhsa_inst_pref_size 2
		.amdhsa_round_robin_scheduling 0
		.amdhsa_exception_fp_ieee_invalid_op 0
		.amdhsa_exception_fp_denorm_src 0
		.amdhsa_exception_fp_ieee_div_zero 0
		.amdhsa_exception_fp_ieee_overflow 0
		.amdhsa_exception_fp_ieee_underflow 0
		.amdhsa_exception_fp_ieee_inexact 0
		.amdhsa_exception_int_div_zero 0
	.end_amdhsa_kernel
	.section	.text._Z6kernelI23warp_striped_to_blockedN15benchmark_utils11custom_typeIddEELj256ELj1ELj100EEvPKT0_PKjPS4_,"axG",@progbits,_Z6kernelI23warp_striped_to_blockedN15benchmark_utils11custom_typeIddEELj256ELj1ELj100EEvPKT0_PKjPS4_,comdat
.Lfunc_end114:
	.size	_Z6kernelI23warp_striped_to_blockedN15benchmark_utils11custom_typeIddEELj256ELj1ELj100EEvPKT0_PKjPS4_, .Lfunc_end114-_Z6kernelI23warp_striped_to_blockedN15benchmark_utils11custom_typeIddEELj256ELj1ELj100EEvPKT0_PKjPS4_
                                        ; -- End function
	.set _Z6kernelI23warp_striped_to_blockedN15benchmark_utils11custom_typeIddEELj256ELj1ELj100EEvPKT0_PKjPS4_.num_vgpr, 10
	.set _Z6kernelI23warp_striped_to_blockedN15benchmark_utils11custom_typeIddEELj256ELj1ELj100EEvPKT0_PKjPS4_.num_agpr, 0
	.set _Z6kernelI23warp_striped_to_blockedN15benchmark_utils11custom_typeIddEELj256ELj1ELj100EEvPKT0_PKjPS4_.numbered_sgpr, 7
	.set _Z6kernelI23warp_striped_to_blockedN15benchmark_utils11custom_typeIddEELj256ELj1ELj100EEvPKT0_PKjPS4_.num_named_barrier, 0
	.set _Z6kernelI23warp_striped_to_blockedN15benchmark_utils11custom_typeIddEELj256ELj1ELj100EEvPKT0_PKjPS4_.private_seg_size, 0
	.set _Z6kernelI23warp_striped_to_blockedN15benchmark_utils11custom_typeIddEELj256ELj1ELj100EEvPKT0_PKjPS4_.uses_vcc, 0
	.set _Z6kernelI23warp_striped_to_blockedN15benchmark_utils11custom_typeIddEELj256ELj1ELj100EEvPKT0_PKjPS4_.uses_flat_scratch, 0
	.set _Z6kernelI23warp_striped_to_blockedN15benchmark_utils11custom_typeIddEELj256ELj1ELj100EEvPKT0_PKjPS4_.has_dyn_sized_stack, 0
	.set _Z6kernelI23warp_striped_to_blockedN15benchmark_utils11custom_typeIddEELj256ELj1ELj100EEvPKT0_PKjPS4_.has_recursion, 0
	.set _Z6kernelI23warp_striped_to_blockedN15benchmark_utils11custom_typeIddEELj256ELj1ELj100EEvPKT0_PKjPS4_.has_indirect_call, 0
	.section	.AMDGPU.csdata,"",@progbits
; Kernel info:
; codeLenInByte = 208
; TotalNumSgprs: 7
; NumVgprs: 10
; ScratchSize: 0
; MemoryBound: 0
; FloatMode: 240
; IeeeMode: 1
; LDSByteSize: 4096 bytes/workgroup (compile time only)
; SGPRBlocks: 0
; VGPRBlocks: 0
; NumSGPRsForWavesPerEU: 7
; NumVGPRsForWavesPerEU: 10
; NamedBarCnt: 0
; Occupancy: 16
; WaveLimiterHint : 0
; COMPUTE_PGM_RSRC2:SCRATCH_EN: 0
; COMPUTE_PGM_RSRC2:USER_SGPR: 2
; COMPUTE_PGM_RSRC2:TRAP_HANDLER: 0
; COMPUTE_PGM_RSRC2:TGID_X_EN: 1
; COMPUTE_PGM_RSRC2:TGID_Y_EN: 0
; COMPUTE_PGM_RSRC2:TGID_Z_EN: 0
; COMPUTE_PGM_RSRC2:TIDIG_COMP_CNT: 0
	.section	.text._Z6kernelI23warp_striped_to_blockedN15benchmark_utils11custom_typeIddEELj256ELj2ELj100EEvPKT0_PKjPS4_,"axG",@progbits,_Z6kernelI23warp_striped_to_blockedN15benchmark_utils11custom_typeIddEELj256ELj2ELj100EEvPKT0_PKjPS4_,comdat
	.protected	_Z6kernelI23warp_striped_to_blockedN15benchmark_utils11custom_typeIddEELj256ELj2ELj100EEvPKT0_PKjPS4_ ; -- Begin function _Z6kernelI23warp_striped_to_blockedN15benchmark_utils11custom_typeIddEELj256ELj2ELj100EEvPKT0_PKjPS4_
	.globl	_Z6kernelI23warp_striped_to_blockedN15benchmark_utils11custom_typeIddEELj256ELj2ELj100EEvPKT0_PKjPS4_
	.p2align	8
	.type	_Z6kernelI23warp_striped_to_blockedN15benchmark_utils11custom_typeIddEELj256ELj2ELj100EEvPKT0_PKjPS4_,@function
_Z6kernelI23warp_striped_to_blockedN15benchmark_utils11custom_typeIddEELj256ELj2ELj100EEvPKT0_PKjPS4_: ; @_Z6kernelI23warp_striped_to_blockedN15benchmark_utils11custom_typeIddEELj256ELj2ELj100EEvPKT0_PKjPS4_
; %bb.0:
	s_load_b64 s[4:5], s[0:1], 0x0
	s_bfe_u32 s6, ttmp6, 0x4000c
	s_and_b32 s2, ttmp6, 15
	s_add_co_i32 s6, s6, 1
	s_getreg_b32 s7, hwreg(HW_REG_IB_STS2, 6, 4)
	s_mul_i32 s6, ttmp9, s6
	v_mbcnt_lo_u32_b32 v12, -1, 0
	s_add_co_i32 s2, s2, s6
	s_cmp_eq_u32 s7, 0
	v_dual_lshlrev_b32 v1, 1, v0 :: v_dual_mov_b32 v3, 0
	s_cselect_b32 s2, ttmp9, s2
	s_mov_b32 s3, 0
	s_lshl_b32 s2, s2, 9
	s_delay_alu instid0(VALU_DEP_1)
	v_and_b32_e32 v13, 0x180, v1
	v_lshlrev_b32_e32 v2, 4, v12
	s_lshl_b64 s[2:3], s[2:3], 4
	v_and_b32_e32 v0, 0xc0, v0
	s_wait_kmcnt 0x0
	s_add_nc_u64 s[4:5], s[4:5], s[2:3]
	s_delay_alu instid0(SALU_CYCLE_1) | instskip(SKIP_2) | instid1(VALU_DEP_1)
	v_add_nc_u64_e32 v[4:5], s[4:5], v[2:3]
	v_lshlrev_b32_e32 v2, 4, v13
	s_movk_i32 s4, 0x64
	v_add_nc_u64_e32 v[10:11], v[4:5], v[2:3]
	s_clause 0x1
	global_load_b128 v[6:9], v[10:11], off
	global_load_b128 v[2:5], v[10:11], off offset:1024
	s_wait_xcnt 0x0
	v_lshrrev_b16 v10, 1, v13
	v_or_b32_e32 v11, v12, v13
	v_or_b32_e32 v13, 64, v13
	s_delay_alu instid0(VALU_DEP_3) | instskip(NEXT) | instid1(VALU_DEP_2)
	v_and_b32_e32 v10, 0xffff, v10
	v_dual_lshlrev_b32 v11, 4, v11 :: v_dual_lshrrev_b32 v13, 1, v13
	v_or_b32_e32 v14, v12, v0
	v_bitop3_b32 v12, v12, 0xd0, v0 bitop3:0xc8
	s_delay_alu instid0(VALU_DEP_3) | instskip(NEXT) | instid1(VALU_DEP_2)
	v_dual_add_nc_u32 v0, v10, v11 :: v_dual_add_nc_u32 v10, v13, v11
	v_lshl_add_u32 v11, v14, 5, v12
.LBB115_1:                              ; =>This Inner Loop Header: Depth=1
	s_wait_loadcnt 0x1
	ds_store_b128 v0, v[6:9]
	s_wait_loadcnt 0x0
	ds_store_b128 v10, v[2:5] offset:1024
	; wave barrier
	ds_load_b128 v[6:9], v11
	ds_load_b128 v[2:5], v11 offset:16
	s_add_co_i32 s4, s4, -1
	s_wait_dscnt 0x0
	s_cmp_lg_u32 s4, 0
	s_barrier_signal -1
	s_barrier_wait -1
	s_cbranch_scc1 .LBB115_1
; %bb.2:
	s_load_b64 s[0:1], s[0:1], 0x10
	s_wait_kmcnt 0x0
	s_add_nc_u64 s[0:1], s[0:1], s[2:3]
	s_clause 0x1
	global_store_b128 v1, v[6:9], s[0:1] scale_offset
	global_store_b128 v1, v[2:5], s[0:1] offset:16 scale_offset
	s_endpgm
	.section	.rodata,"a",@progbits
	.p2align	6, 0x0
	.amdhsa_kernel _Z6kernelI23warp_striped_to_blockedN15benchmark_utils11custom_typeIddEELj256ELj2ELj100EEvPKT0_PKjPS4_
		.amdhsa_group_segment_fixed_size 8448
		.amdhsa_private_segment_fixed_size 0
		.amdhsa_kernarg_size 24
		.amdhsa_user_sgpr_count 2
		.amdhsa_user_sgpr_dispatch_ptr 0
		.amdhsa_user_sgpr_queue_ptr 0
		.amdhsa_user_sgpr_kernarg_segment_ptr 1
		.amdhsa_user_sgpr_dispatch_id 0
		.amdhsa_user_sgpr_kernarg_preload_length 0
		.amdhsa_user_sgpr_kernarg_preload_offset 0
		.amdhsa_user_sgpr_private_segment_size 0
		.amdhsa_wavefront_size32 1
		.amdhsa_uses_dynamic_stack 0
		.amdhsa_enable_private_segment 0
		.amdhsa_system_sgpr_workgroup_id_x 1
		.amdhsa_system_sgpr_workgroup_id_y 0
		.amdhsa_system_sgpr_workgroup_id_z 0
		.amdhsa_system_sgpr_workgroup_info 0
		.amdhsa_system_vgpr_workitem_id 0
		.amdhsa_next_free_vgpr 15
		.amdhsa_next_free_sgpr 8
		.amdhsa_named_barrier_count 0
		.amdhsa_reserve_vcc 0
		.amdhsa_float_round_mode_32 0
		.amdhsa_float_round_mode_16_64 0
		.amdhsa_float_denorm_mode_32 3
		.amdhsa_float_denorm_mode_16_64 3
		.amdhsa_fp16_overflow 0
		.amdhsa_memory_ordered 1
		.amdhsa_forward_progress 1
		.amdhsa_inst_pref_size 3
		.amdhsa_round_robin_scheduling 0
		.amdhsa_exception_fp_ieee_invalid_op 0
		.amdhsa_exception_fp_denorm_src 0
		.amdhsa_exception_fp_ieee_div_zero 0
		.amdhsa_exception_fp_ieee_overflow 0
		.amdhsa_exception_fp_ieee_underflow 0
		.amdhsa_exception_fp_ieee_inexact 0
		.amdhsa_exception_int_div_zero 0
	.end_amdhsa_kernel
	.section	.text._Z6kernelI23warp_striped_to_blockedN15benchmark_utils11custom_typeIddEELj256ELj2ELj100EEvPKT0_PKjPS4_,"axG",@progbits,_Z6kernelI23warp_striped_to_blockedN15benchmark_utils11custom_typeIddEELj256ELj2ELj100EEvPKT0_PKjPS4_,comdat
.Lfunc_end115:
	.size	_Z6kernelI23warp_striped_to_blockedN15benchmark_utils11custom_typeIddEELj256ELj2ELj100EEvPKT0_PKjPS4_, .Lfunc_end115-_Z6kernelI23warp_striped_to_blockedN15benchmark_utils11custom_typeIddEELj256ELj2ELj100EEvPKT0_PKjPS4_
                                        ; -- End function
	.set _Z6kernelI23warp_striped_to_blockedN15benchmark_utils11custom_typeIddEELj256ELj2ELj100EEvPKT0_PKjPS4_.num_vgpr, 15
	.set _Z6kernelI23warp_striped_to_blockedN15benchmark_utils11custom_typeIddEELj256ELj2ELj100EEvPKT0_PKjPS4_.num_agpr, 0
	.set _Z6kernelI23warp_striped_to_blockedN15benchmark_utils11custom_typeIddEELj256ELj2ELj100EEvPKT0_PKjPS4_.numbered_sgpr, 8
	.set _Z6kernelI23warp_striped_to_blockedN15benchmark_utils11custom_typeIddEELj256ELj2ELj100EEvPKT0_PKjPS4_.num_named_barrier, 0
	.set _Z6kernelI23warp_striped_to_blockedN15benchmark_utils11custom_typeIddEELj256ELj2ELj100EEvPKT0_PKjPS4_.private_seg_size, 0
	.set _Z6kernelI23warp_striped_to_blockedN15benchmark_utils11custom_typeIddEELj256ELj2ELj100EEvPKT0_PKjPS4_.uses_vcc, 0
	.set _Z6kernelI23warp_striped_to_blockedN15benchmark_utils11custom_typeIddEELj256ELj2ELj100EEvPKT0_PKjPS4_.uses_flat_scratch, 0
	.set _Z6kernelI23warp_striped_to_blockedN15benchmark_utils11custom_typeIddEELj256ELj2ELj100EEvPKT0_PKjPS4_.has_dyn_sized_stack, 0
	.set _Z6kernelI23warp_striped_to_blockedN15benchmark_utils11custom_typeIddEELj256ELj2ELj100EEvPKT0_PKjPS4_.has_recursion, 0
	.set _Z6kernelI23warp_striped_to_blockedN15benchmark_utils11custom_typeIddEELj256ELj2ELj100EEvPKT0_PKjPS4_.has_indirect_call, 0
	.section	.AMDGPU.csdata,"",@progbits
; Kernel info:
; codeLenInByte = 352
; TotalNumSgprs: 8
; NumVgprs: 15
; ScratchSize: 0
; MemoryBound: 0
; FloatMode: 240
; IeeeMode: 1
; LDSByteSize: 8448 bytes/workgroup (compile time only)
; SGPRBlocks: 0
; VGPRBlocks: 0
; NumSGPRsForWavesPerEU: 8
; NumVGPRsForWavesPerEU: 15
; NamedBarCnt: 0
; Occupancy: 16
; WaveLimiterHint : 1
; COMPUTE_PGM_RSRC2:SCRATCH_EN: 0
; COMPUTE_PGM_RSRC2:USER_SGPR: 2
; COMPUTE_PGM_RSRC2:TRAP_HANDLER: 0
; COMPUTE_PGM_RSRC2:TGID_X_EN: 1
; COMPUTE_PGM_RSRC2:TGID_Y_EN: 0
; COMPUTE_PGM_RSRC2:TGID_Z_EN: 0
; COMPUTE_PGM_RSRC2:TIDIG_COMP_CNT: 0
	.section	.text._Z6kernelI23warp_striped_to_blockedN15benchmark_utils11custom_typeIddEELj256ELj3ELj100EEvPKT0_PKjPS4_,"axG",@progbits,_Z6kernelI23warp_striped_to_blockedN15benchmark_utils11custom_typeIddEELj256ELj3ELj100EEvPKT0_PKjPS4_,comdat
	.protected	_Z6kernelI23warp_striped_to_blockedN15benchmark_utils11custom_typeIddEELj256ELj3ELj100EEvPKT0_PKjPS4_ ; -- Begin function _Z6kernelI23warp_striped_to_blockedN15benchmark_utils11custom_typeIddEELj256ELj3ELj100EEvPKT0_PKjPS4_
	.globl	_Z6kernelI23warp_striped_to_blockedN15benchmark_utils11custom_typeIddEELj256ELj3ELj100EEvPKT0_PKjPS4_
	.p2align	8
	.type	_Z6kernelI23warp_striped_to_blockedN15benchmark_utils11custom_typeIddEELj256ELj3ELj100EEvPKT0_PKjPS4_,@function
_Z6kernelI23warp_striped_to_blockedN15benchmark_utils11custom_typeIddEELj256ELj3ELj100EEvPKT0_PKjPS4_: ; @_Z6kernelI23warp_striped_to_blockedN15benchmark_utils11custom_typeIddEELj256ELj3ELj100EEvPKT0_PKjPS4_
; %bb.0:
	s_load_b64 s[4:5], s[0:1], 0x0
	s_bfe_u32 s6, ttmp6, 0x4000c
	s_and_b32 s2, ttmp6, 15
	s_add_co_i32 s6, s6, 1
	s_getreg_b32 s7, hwreg(HW_REG_IB_STS2, 6, 4)
	s_mul_i32 s6, ttmp9, s6
	v_mbcnt_lo_u32_b32 v18, -1, 0
	s_add_co_i32 s2, s2, s6
	s_cmp_eq_u32 s7, 0
	v_and_b32_e32 v1, 0xc0, v0
	s_cselect_b32 s2, ttmp9, s2
	s_mov_b32 s3, 0
	s_mulk_i32 s2, 0x300
	v_dual_mov_b32 v15, 0 :: v_dual_lshlrev_b32 v14, 4, v18
	s_lshl_b64 s[2:3], s[2:3], 4
	v_mul_u32_u24_e32 v1, 3, v1
	s_delay_alu instid0(VALU_DEP_2) | instskip(SKIP_2) | instid1(VALU_DEP_2)
	v_mov_b32_e32 v5, v15
	s_wait_kmcnt 0x0
	s_add_nc_u64 s[4:5], s[4:5], s[2:3]
	v_lshlrev_b32_e32 v4, 4, v1
	v_add_nc_u64_e32 v[2:3], s[4:5], v[14:15]
	v_lshrrev_b32_e32 v1, 6, v0
	s_movk_i32 s4, 0x64
	s_delay_alu instid0(VALU_DEP_1) | instskip(NEXT) | instid1(VALU_DEP_3)
	v_mul_u32_u24_e32 v1, 0xc0, v1
	v_add_nc_u64_e32 v[16:17], v[2:3], v[4:5]
	s_clause 0x2
	global_load_b128 v[10:13], v[16:17], off
	global_load_b128 v[6:9], v[16:17], off offset:1024
	global_load_b128 v[2:5], v[16:17], off offset:2048
	v_lshlrev_b32_e32 v15, 4, v1
	s_delay_alu instid0(VALU_DEP_1)
	v_or_b32_e32 v1, v14, v15
	v_mad_u32_u24 v14, v18, 48, v15
.LBB116_1:                              ; =>This Inner Loop Header: Depth=1
	s_wait_loadcnt 0x2
	ds_store_b128 v1, v[10:13]
	s_wait_loadcnt 0x1
	ds_store_b128 v1, v[6:9] offset:1024
	s_wait_loadcnt 0x0
	ds_store_b128 v1, v[2:5] offset:2048
	; wave barrier
	ds_load_b128 v[10:13], v14
	ds_load_b128 v[6:9], v14 offset:16
	ds_load_b128 v[2:5], v14 offset:32
	s_add_co_i32 s4, s4, -1
	s_wait_dscnt 0x0
	s_cmp_lg_u32 s4, 0
	s_barrier_signal -1
	s_barrier_wait -1
	s_cbranch_scc1 .LBB116_1
; %bb.2:
	s_load_b64 s[0:1], s[0:1], 0x10
	v_mul_u32_u24_e32 v0, 3, v0
	s_wait_kmcnt 0x0
	s_add_nc_u64 s[0:1], s[0:1], s[2:3]
	s_clause 0x2
	global_store_b128 v0, v[10:13], s[0:1] scale_offset
	global_store_b128 v0, v[6:9], s[0:1] offset:16 scale_offset
	global_store_b128 v0, v[2:5], s[0:1] offset:32 scale_offset
	s_endpgm
	.section	.rodata,"a",@progbits
	.p2align	6, 0x0
	.amdhsa_kernel _Z6kernelI23warp_striped_to_blockedN15benchmark_utils11custom_typeIddEELj256ELj3ELj100EEvPKT0_PKjPS4_
		.amdhsa_group_segment_fixed_size 12288
		.amdhsa_private_segment_fixed_size 0
		.amdhsa_kernarg_size 24
		.amdhsa_user_sgpr_count 2
		.amdhsa_user_sgpr_dispatch_ptr 0
		.amdhsa_user_sgpr_queue_ptr 0
		.amdhsa_user_sgpr_kernarg_segment_ptr 1
		.amdhsa_user_sgpr_dispatch_id 0
		.amdhsa_user_sgpr_kernarg_preload_length 0
		.amdhsa_user_sgpr_kernarg_preload_offset 0
		.amdhsa_user_sgpr_private_segment_size 0
		.amdhsa_wavefront_size32 1
		.amdhsa_uses_dynamic_stack 0
		.amdhsa_enable_private_segment 0
		.amdhsa_system_sgpr_workgroup_id_x 1
		.amdhsa_system_sgpr_workgroup_id_y 0
		.amdhsa_system_sgpr_workgroup_id_z 0
		.amdhsa_system_sgpr_workgroup_info 0
		.amdhsa_system_vgpr_workitem_id 0
		.amdhsa_next_free_vgpr 19
		.amdhsa_next_free_sgpr 8
		.amdhsa_named_barrier_count 0
		.amdhsa_reserve_vcc 0
		.amdhsa_float_round_mode_32 0
		.amdhsa_float_round_mode_16_64 0
		.amdhsa_float_denorm_mode_32 3
		.amdhsa_float_denorm_mode_16_64 3
		.amdhsa_fp16_overflow 0
		.amdhsa_memory_ordered 1
		.amdhsa_forward_progress 1
		.amdhsa_inst_pref_size 3
		.amdhsa_round_robin_scheduling 0
		.amdhsa_exception_fp_ieee_invalid_op 0
		.amdhsa_exception_fp_denorm_src 0
		.amdhsa_exception_fp_ieee_div_zero 0
		.amdhsa_exception_fp_ieee_overflow 0
		.amdhsa_exception_fp_ieee_underflow 0
		.amdhsa_exception_fp_ieee_inexact 0
		.amdhsa_exception_int_div_zero 0
	.end_amdhsa_kernel
	.section	.text._Z6kernelI23warp_striped_to_blockedN15benchmark_utils11custom_typeIddEELj256ELj3ELj100EEvPKT0_PKjPS4_,"axG",@progbits,_Z6kernelI23warp_striped_to_blockedN15benchmark_utils11custom_typeIddEELj256ELj3ELj100EEvPKT0_PKjPS4_,comdat
.Lfunc_end116:
	.size	_Z6kernelI23warp_striped_to_blockedN15benchmark_utils11custom_typeIddEELj256ELj3ELj100EEvPKT0_PKjPS4_, .Lfunc_end116-_Z6kernelI23warp_striped_to_blockedN15benchmark_utils11custom_typeIddEELj256ELj3ELj100EEvPKT0_PKjPS4_
                                        ; -- End function
	.set _Z6kernelI23warp_striped_to_blockedN15benchmark_utils11custom_typeIddEELj256ELj3ELj100EEvPKT0_PKjPS4_.num_vgpr, 19
	.set _Z6kernelI23warp_striped_to_blockedN15benchmark_utils11custom_typeIddEELj256ELj3ELj100EEvPKT0_PKjPS4_.num_agpr, 0
	.set _Z6kernelI23warp_striped_to_blockedN15benchmark_utils11custom_typeIddEELj256ELj3ELj100EEvPKT0_PKjPS4_.numbered_sgpr, 8
	.set _Z6kernelI23warp_striped_to_blockedN15benchmark_utils11custom_typeIddEELj256ELj3ELj100EEvPKT0_PKjPS4_.num_named_barrier, 0
	.set _Z6kernelI23warp_striped_to_blockedN15benchmark_utils11custom_typeIddEELj256ELj3ELj100EEvPKT0_PKjPS4_.private_seg_size, 0
	.set _Z6kernelI23warp_striped_to_blockedN15benchmark_utils11custom_typeIddEELj256ELj3ELj100EEvPKT0_PKjPS4_.uses_vcc, 0
	.set _Z6kernelI23warp_striped_to_blockedN15benchmark_utils11custom_typeIddEELj256ELj3ELj100EEvPKT0_PKjPS4_.uses_flat_scratch, 0
	.set _Z6kernelI23warp_striped_to_blockedN15benchmark_utils11custom_typeIddEELj256ELj3ELj100EEvPKT0_PKjPS4_.has_dyn_sized_stack, 0
	.set _Z6kernelI23warp_striped_to_blockedN15benchmark_utils11custom_typeIddEELj256ELj3ELj100EEvPKT0_PKjPS4_.has_recursion, 0
	.set _Z6kernelI23warp_striped_to_blockedN15benchmark_utils11custom_typeIddEELj256ELj3ELj100EEvPKT0_PKjPS4_.has_indirect_call, 0
	.section	.AMDGPU.csdata,"",@progbits
; Kernel info:
; codeLenInByte = 340
; TotalNumSgprs: 8
; NumVgprs: 19
; ScratchSize: 0
; MemoryBound: 0
; FloatMode: 240
; IeeeMode: 1
; LDSByteSize: 12288 bytes/workgroup (compile time only)
; SGPRBlocks: 0
; VGPRBlocks: 1
; NumSGPRsForWavesPerEU: 8
; NumVGPRsForWavesPerEU: 19
; NamedBarCnt: 0
; Occupancy: 16
; WaveLimiterHint : 1
; COMPUTE_PGM_RSRC2:SCRATCH_EN: 0
; COMPUTE_PGM_RSRC2:USER_SGPR: 2
; COMPUTE_PGM_RSRC2:TRAP_HANDLER: 0
; COMPUTE_PGM_RSRC2:TGID_X_EN: 1
; COMPUTE_PGM_RSRC2:TGID_Y_EN: 0
; COMPUTE_PGM_RSRC2:TGID_Z_EN: 0
; COMPUTE_PGM_RSRC2:TIDIG_COMP_CNT: 0
	.section	.text._Z6kernelI23warp_striped_to_blockedN15benchmark_utils11custom_typeIddEELj256ELj4ELj100EEvPKT0_PKjPS4_,"axG",@progbits,_Z6kernelI23warp_striped_to_blockedN15benchmark_utils11custom_typeIddEELj256ELj4ELj100EEvPKT0_PKjPS4_,comdat
	.protected	_Z6kernelI23warp_striped_to_blockedN15benchmark_utils11custom_typeIddEELj256ELj4ELj100EEvPKT0_PKjPS4_ ; -- Begin function _Z6kernelI23warp_striped_to_blockedN15benchmark_utils11custom_typeIddEELj256ELj4ELj100EEvPKT0_PKjPS4_
	.globl	_Z6kernelI23warp_striped_to_blockedN15benchmark_utils11custom_typeIddEELj256ELj4ELj100EEvPKT0_PKjPS4_
	.p2align	8
	.type	_Z6kernelI23warp_striped_to_blockedN15benchmark_utils11custom_typeIddEELj256ELj4ELj100EEvPKT0_PKjPS4_,@function
_Z6kernelI23warp_striped_to_blockedN15benchmark_utils11custom_typeIddEELj256ELj4ELj100EEvPKT0_PKjPS4_: ; @_Z6kernelI23warp_striped_to_blockedN15benchmark_utils11custom_typeIddEELj256ELj4ELj100EEvPKT0_PKjPS4_
; %bb.0:
	s_load_b64 s[4:5], s[0:1], 0x0
	s_bfe_u32 s6, ttmp6, 0x4000c
	s_and_b32 s2, ttmp6, 15
	s_add_co_i32 s6, s6, 1
	s_getreg_b32 s7, hwreg(HW_REG_IB_STS2, 6, 4)
	s_mul_i32 s6, ttmp9, s6
	v_mbcnt_lo_u32_b32 v20, -1, 0
	s_add_co_i32 s2, s2, s6
	s_cmp_eq_u32 s7, 0
	v_dual_lshlrev_b32 v1, 2, v0 :: v_dual_mov_b32 v3, 0
	s_cselect_b32 s2, ttmp9, s2
	s_mov_b32 s3, 0
	s_lshl_b32 s2, s2, 10
	s_delay_alu instid0(VALU_DEP_1)
	v_and_b32_e32 v21, 0x300, v1
	v_lshlrev_b32_e32 v2, 4, v20
	s_lshl_b64 s[2:3], s[2:3], 4
	v_and_or_b32 v22, 0xc0, v0, v20
	s_wait_kmcnt 0x0
	s_add_nc_u64 s[4:5], s[4:5], s[2:3]
	s_delay_alu instid0(SALU_CYCLE_1) | instskip(SKIP_2) | instid1(VALU_DEP_1)
	v_add_nc_u64_e32 v[4:5], s[4:5], v[2:3]
	v_lshlrev_b32_e32 v2, 4, v21
	s_movk_i32 s4, 0x64
	v_add_nc_u64_e32 v[18:19], v[4:5], v[2:3]
	s_clause 0x3
	global_load_b128 v[14:17], v[18:19], off
	global_load_b128 v[10:13], v[18:19], off offset:1024
	global_load_b128 v[6:9], v[18:19], off offset:2048
	;; [unrolled: 1-line block ×3, first 2 shown]
	s_wait_xcnt 0x0
	v_lshrrev_b16 v18, 1, v21
	v_or_b32_e32 v19, v20, v21
	v_or_b32_e32 v20, 0x80, v21
	v_lshlrev_b32_e32 v23, 1, v22
	s_delay_alu instid0(VALU_DEP_4) | instskip(SKIP_3) | instid1(VALU_DEP_2)
	v_and_b32_e32 v0, 0xffff, v18
	v_or_b32_e32 v18, 64, v21
	v_or_b32_e32 v21, 0xc0, v21
	v_dual_lshlrev_b32 v24, 4, v19 :: v_dual_lshrrev_b32 v19, 1, v20
	v_dual_lshrrev_b32 v18, 1, v18 :: v_dual_lshrrev_b32 v20, 1, v21
	s_delay_alu instid0(VALU_DEP_2) | instskip(SKIP_1) | instid1(VALU_DEP_3)
	v_add_nc_u32_e32 v0, v0, v24
	v_and_b32_e32 v21, 0x1b0, v23
	v_dual_add_nc_u32 v19, v19, v24 :: v_dual_add_nc_u32 v18, v18, v24
	s_delay_alu instid0(VALU_DEP_4) | instskip(NEXT) | instid1(VALU_DEP_3)
	v_add_nc_u32_e32 v20, v20, v24
	v_lshl_add_u32 v21, v22, 6, v21
.LBB117_1:                              ; =>This Inner Loop Header: Depth=1
	s_wait_loadcnt 0x3
	ds_store_b128 v0, v[14:17]
	s_wait_loadcnt 0x2
	ds_store_b128 v18, v[10:13] offset:1024
	s_wait_loadcnt 0x1
	ds_store_b128 v19, v[6:9] offset:2048
	;; [unrolled: 2-line block ×3, first 2 shown]
	; wave barrier
	ds_load_b128 v[14:17], v21
	ds_load_b128 v[10:13], v21 offset:16
	ds_load_b128 v[6:9], v21 offset:32
	;; [unrolled: 1-line block ×3, first 2 shown]
	s_add_co_i32 s4, s4, -1
	s_wait_dscnt 0x0
	s_cmp_lg_u32 s4, 0
	s_barrier_signal -1
	s_barrier_wait -1
	s_cbranch_scc1 .LBB117_1
; %bb.2:
	s_load_b64 s[0:1], s[0:1], 0x10
	s_wait_kmcnt 0x0
	s_add_nc_u64 s[0:1], s[0:1], s[2:3]
	s_clause 0x3
	global_store_b128 v1, v[14:17], s[0:1] scale_offset
	global_store_b128 v1, v[10:13], s[0:1] offset:16 scale_offset
	global_store_b128 v1, v[6:9], s[0:1] offset:32 scale_offset
	;; [unrolled: 1-line block ×3, first 2 shown]
	s_endpgm
	.section	.rodata,"a",@progbits
	.p2align	6, 0x0
	.amdhsa_kernel _Z6kernelI23warp_striped_to_blockedN15benchmark_utils11custom_typeIddEELj256ELj4ELj100EEvPKT0_PKjPS4_
		.amdhsa_group_segment_fixed_size 16896
		.amdhsa_private_segment_fixed_size 0
		.amdhsa_kernarg_size 24
		.amdhsa_user_sgpr_count 2
		.amdhsa_user_sgpr_dispatch_ptr 0
		.amdhsa_user_sgpr_queue_ptr 0
		.amdhsa_user_sgpr_kernarg_segment_ptr 1
		.amdhsa_user_sgpr_dispatch_id 0
		.amdhsa_user_sgpr_kernarg_preload_length 0
		.amdhsa_user_sgpr_kernarg_preload_offset 0
		.amdhsa_user_sgpr_private_segment_size 0
		.amdhsa_wavefront_size32 1
		.amdhsa_uses_dynamic_stack 0
		.amdhsa_enable_private_segment 0
		.amdhsa_system_sgpr_workgroup_id_x 1
		.amdhsa_system_sgpr_workgroup_id_y 0
		.amdhsa_system_sgpr_workgroup_id_z 0
		.amdhsa_system_sgpr_workgroup_info 0
		.amdhsa_system_vgpr_workitem_id 0
		.amdhsa_next_free_vgpr 25
		.amdhsa_next_free_sgpr 8
		.amdhsa_named_barrier_count 0
		.amdhsa_reserve_vcc 0
		.amdhsa_float_round_mode_32 0
		.amdhsa_float_round_mode_16_64 0
		.amdhsa_float_denorm_mode_32 3
		.amdhsa_float_denorm_mode_16_64 3
		.amdhsa_fp16_overflow 0
		.amdhsa_memory_ordered 1
		.amdhsa_forward_progress 1
		.amdhsa_inst_pref_size 4
		.amdhsa_round_robin_scheduling 0
		.amdhsa_exception_fp_ieee_invalid_op 0
		.amdhsa_exception_fp_denorm_src 0
		.amdhsa_exception_fp_ieee_div_zero 0
		.amdhsa_exception_fp_ieee_overflow 0
		.amdhsa_exception_fp_ieee_underflow 0
		.amdhsa_exception_fp_ieee_inexact 0
		.amdhsa_exception_int_div_zero 0
	.end_amdhsa_kernel
	.section	.text._Z6kernelI23warp_striped_to_blockedN15benchmark_utils11custom_typeIddEELj256ELj4ELj100EEvPKT0_PKjPS4_,"axG",@progbits,_Z6kernelI23warp_striped_to_blockedN15benchmark_utils11custom_typeIddEELj256ELj4ELj100EEvPKT0_PKjPS4_,comdat
.Lfunc_end117:
	.size	_Z6kernelI23warp_striped_to_blockedN15benchmark_utils11custom_typeIddEELj256ELj4ELj100EEvPKT0_PKjPS4_, .Lfunc_end117-_Z6kernelI23warp_striped_to_blockedN15benchmark_utils11custom_typeIddEELj256ELj4ELj100EEvPKT0_PKjPS4_
                                        ; -- End function
	.set _Z6kernelI23warp_striped_to_blockedN15benchmark_utils11custom_typeIddEELj256ELj4ELj100EEvPKT0_PKjPS4_.num_vgpr, 25
	.set _Z6kernelI23warp_striped_to_blockedN15benchmark_utils11custom_typeIddEELj256ELj4ELj100EEvPKT0_PKjPS4_.num_agpr, 0
	.set _Z6kernelI23warp_striped_to_blockedN15benchmark_utils11custom_typeIddEELj256ELj4ELj100EEvPKT0_PKjPS4_.numbered_sgpr, 8
	.set _Z6kernelI23warp_striped_to_blockedN15benchmark_utils11custom_typeIddEELj256ELj4ELj100EEvPKT0_PKjPS4_.num_named_barrier, 0
	.set _Z6kernelI23warp_striped_to_blockedN15benchmark_utils11custom_typeIddEELj256ELj4ELj100EEvPKT0_PKjPS4_.private_seg_size, 0
	.set _Z6kernelI23warp_striped_to_blockedN15benchmark_utils11custom_typeIddEELj256ELj4ELj100EEvPKT0_PKjPS4_.uses_vcc, 0
	.set _Z6kernelI23warp_striped_to_blockedN15benchmark_utils11custom_typeIddEELj256ELj4ELj100EEvPKT0_PKjPS4_.uses_flat_scratch, 0
	.set _Z6kernelI23warp_striped_to_blockedN15benchmark_utils11custom_typeIddEELj256ELj4ELj100EEvPKT0_PKjPS4_.has_dyn_sized_stack, 0
	.set _Z6kernelI23warp_striped_to_blockedN15benchmark_utils11custom_typeIddEELj256ELj4ELj100EEvPKT0_PKjPS4_.has_recursion, 0
	.set _Z6kernelI23warp_striped_to_blockedN15benchmark_utils11custom_typeIddEELj256ELj4ELj100EEvPKT0_PKjPS4_.has_indirect_call, 0
	.section	.AMDGPU.csdata,"",@progbits
; Kernel info:
; codeLenInByte = 480
; TotalNumSgprs: 8
; NumVgprs: 25
; ScratchSize: 0
; MemoryBound: 0
; FloatMode: 240
; IeeeMode: 1
; LDSByteSize: 16896 bytes/workgroup (compile time only)
; SGPRBlocks: 0
; VGPRBlocks: 1
; NumSGPRsForWavesPerEU: 8
; NumVGPRsForWavesPerEU: 25
; NamedBarCnt: 0
; Occupancy: 16
; WaveLimiterHint : 1
; COMPUTE_PGM_RSRC2:SCRATCH_EN: 0
; COMPUTE_PGM_RSRC2:USER_SGPR: 2
; COMPUTE_PGM_RSRC2:TRAP_HANDLER: 0
; COMPUTE_PGM_RSRC2:TGID_X_EN: 1
; COMPUTE_PGM_RSRC2:TGID_Y_EN: 0
; COMPUTE_PGM_RSRC2:TGID_Z_EN: 0
; COMPUTE_PGM_RSRC2:TIDIG_COMP_CNT: 0
	.section	.text._Z6kernelI23warp_striped_to_blockedN15benchmark_utils11custom_typeIddEELj256ELj7ELj100EEvPKT0_PKjPS4_,"axG",@progbits,_Z6kernelI23warp_striped_to_blockedN15benchmark_utils11custom_typeIddEELj256ELj7ELj100EEvPKT0_PKjPS4_,comdat
	.protected	_Z6kernelI23warp_striped_to_blockedN15benchmark_utils11custom_typeIddEELj256ELj7ELj100EEvPKT0_PKjPS4_ ; -- Begin function _Z6kernelI23warp_striped_to_blockedN15benchmark_utils11custom_typeIddEELj256ELj7ELj100EEvPKT0_PKjPS4_
	.globl	_Z6kernelI23warp_striped_to_blockedN15benchmark_utils11custom_typeIddEELj256ELj7ELj100EEvPKT0_PKjPS4_
	.p2align	8
	.type	_Z6kernelI23warp_striped_to_blockedN15benchmark_utils11custom_typeIddEELj256ELj7ELj100EEvPKT0_PKjPS4_,@function
_Z6kernelI23warp_striped_to_blockedN15benchmark_utils11custom_typeIddEELj256ELj7ELj100EEvPKT0_PKjPS4_: ; @_Z6kernelI23warp_striped_to_blockedN15benchmark_utils11custom_typeIddEELj256ELj7ELj100EEvPKT0_PKjPS4_
; %bb.0:
	s_load_b64 s[4:5], s[0:1], 0x0
	s_bfe_u32 s6, ttmp6, 0x4000c
	s_and_b32 s2, ttmp6, 15
	s_add_co_i32 s6, s6, 1
	s_getreg_b32 s7, hwreg(HW_REG_IB_STS2, 6, 4)
	s_mul_i32 s6, ttmp9, s6
	v_mbcnt_lo_u32_b32 v34, -1, 0
	s_add_co_i32 s2, s2, s6
	s_cmp_eq_u32 s7, 0
	v_and_b32_e32 v1, 0xc0, v0
	s_cselect_b32 s2, ttmp9, s2
	s_mov_b32 s3, 0
	s_mulk_i32 s2, 0x700
	v_dual_mov_b32 v31, 0 :: v_dual_lshlrev_b32 v30, 4, v34
	s_lshl_b64 s[2:3], s[2:3], 4
	v_mul_u32_u24_e32 v1, 7, v1
	s_delay_alu instid0(VALU_DEP_2) | instskip(SKIP_2) | instid1(VALU_DEP_2)
	v_mov_b32_e32 v5, v31
	s_wait_kmcnt 0x0
	s_add_nc_u64 s[4:5], s[4:5], s[2:3]
	v_lshlrev_b32_e32 v4, 4, v1
	v_add_nc_u64_e32 v[2:3], s[4:5], v[30:31]
	v_lshrrev_b32_e32 v1, 6, v0
	s_movk_i32 s4, 0x64
	s_delay_alu instid0(VALU_DEP_1) | instskip(NEXT) | instid1(VALU_DEP_3)
	v_mul_u32_u24_e32 v1, 0x1c0, v1
	v_add_nc_u64_e32 v[32:33], v[2:3], v[4:5]
	s_clause 0x6
	global_load_b128 v[14:17], v[32:33], off
	global_load_b128 v[10:13], v[32:33], off offset:1024
	global_load_b128 v[6:9], v[32:33], off offset:2048
	;; [unrolled: 1-line block ×6, first 2 shown]
	v_lshlrev_b32_e32 v31, 4, v1
	s_delay_alu instid0(VALU_DEP_1)
	v_or_b32_e32 v1, v30, v31
	v_mad_u32_u24 v30, 0x70, v34, v31
.LBB118_1:                              ; =>This Inner Loop Header: Depth=1
	s_wait_loadcnt 0x6
	ds_store_b128 v1, v[14:17]
	s_wait_loadcnt 0x5
	ds_store_b128 v1, v[10:13] offset:1024
	s_wait_loadcnt 0x4
	ds_store_b128 v1, v[6:9] offset:2048
	;; [unrolled: 2-line block ×6, first 2 shown]
	; wave barrier
	ds_load_b128 v[14:17], v30
	ds_load_b128 v[10:13], v30 offset:16
	ds_load_b128 v[6:9], v30 offset:32
	;; [unrolled: 1-line block ×6, first 2 shown]
	s_add_co_i32 s4, s4, -1
	s_wait_dscnt 0x0
	s_cmp_lg_u32 s4, 0
	s_barrier_signal -1
	s_barrier_wait -1
	s_cbranch_scc1 .LBB118_1
; %bb.2:
	s_load_b64 s[0:1], s[0:1], 0x10
	v_mul_u32_u24_e32 v0, 7, v0
	s_wait_kmcnt 0x0
	s_add_nc_u64 s[0:1], s[0:1], s[2:3]
	s_clause 0x6
	global_store_b128 v0, v[14:17], s[0:1] scale_offset
	global_store_b128 v0, v[10:13], s[0:1] offset:16 scale_offset
	global_store_b128 v0, v[6:9], s[0:1] offset:32 scale_offset
	;; [unrolled: 1-line block ×6, first 2 shown]
	s_endpgm
	.section	.rodata,"a",@progbits
	.p2align	6, 0x0
	.amdhsa_kernel _Z6kernelI23warp_striped_to_blockedN15benchmark_utils11custom_typeIddEELj256ELj7ELj100EEvPKT0_PKjPS4_
		.amdhsa_group_segment_fixed_size 28672
		.amdhsa_private_segment_fixed_size 0
		.amdhsa_kernarg_size 24
		.amdhsa_user_sgpr_count 2
		.amdhsa_user_sgpr_dispatch_ptr 0
		.amdhsa_user_sgpr_queue_ptr 0
		.amdhsa_user_sgpr_kernarg_segment_ptr 1
		.amdhsa_user_sgpr_dispatch_id 0
		.amdhsa_user_sgpr_kernarg_preload_length 0
		.amdhsa_user_sgpr_kernarg_preload_offset 0
		.amdhsa_user_sgpr_private_segment_size 0
		.amdhsa_wavefront_size32 1
		.amdhsa_uses_dynamic_stack 0
		.amdhsa_enable_private_segment 0
		.amdhsa_system_sgpr_workgroup_id_x 1
		.amdhsa_system_sgpr_workgroup_id_y 0
		.amdhsa_system_sgpr_workgroup_id_z 0
		.amdhsa_system_sgpr_workgroup_info 0
		.amdhsa_system_vgpr_workitem_id 0
		.amdhsa_next_free_vgpr 35
		.amdhsa_next_free_sgpr 8
		.amdhsa_named_barrier_count 0
		.amdhsa_reserve_vcc 0
		.amdhsa_float_round_mode_32 0
		.amdhsa_float_round_mode_16_64 0
		.amdhsa_float_denorm_mode_32 3
		.amdhsa_float_denorm_mode_16_64 3
		.amdhsa_fp16_overflow 0
		.amdhsa_memory_ordered 1
		.amdhsa_forward_progress 1
		.amdhsa_inst_pref_size 5
		.amdhsa_round_robin_scheduling 0
		.amdhsa_exception_fp_ieee_invalid_op 0
		.amdhsa_exception_fp_denorm_src 0
		.amdhsa_exception_fp_ieee_div_zero 0
		.amdhsa_exception_fp_ieee_overflow 0
		.amdhsa_exception_fp_ieee_underflow 0
		.amdhsa_exception_fp_ieee_inexact 0
		.amdhsa_exception_int_div_zero 0
	.end_amdhsa_kernel
	.section	.text._Z6kernelI23warp_striped_to_blockedN15benchmark_utils11custom_typeIddEELj256ELj7ELj100EEvPKT0_PKjPS4_,"axG",@progbits,_Z6kernelI23warp_striped_to_blockedN15benchmark_utils11custom_typeIddEELj256ELj7ELj100EEvPKT0_PKjPS4_,comdat
.Lfunc_end118:
	.size	_Z6kernelI23warp_striped_to_blockedN15benchmark_utils11custom_typeIddEELj256ELj7ELj100EEvPKT0_PKjPS4_, .Lfunc_end118-_Z6kernelI23warp_striped_to_blockedN15benchmark_utils11custom_typeIddEELj256ELj7ELj100EEvPKT0_PKjPS4_
                                        ; -- End function
	.set _Z6kernelI23warp_striped_to_blockedN15benchmark_utils11custom_typeIddEELj256ELj7ELj100EEvPKT0_PKjPS4_.num_vgpr, 35
	.set _Z6kernelI23warp_striped_to_blockedN15benchmark_utils11custom_typeIddEELj256ELj7ELj100EEvPKT0_PKjPS4_.num_agpr, 0
	.set _Z6kernelI23warp_striped_to_blockedN15benchmark_utils11custom_typeIddEELj256ELj7ELj100EEvPKT0_PKjPS4_.numbered_sgpr, 8
	.set _Z6kernelI23warp_striped_to_blockedN15benchmark_utils11custom_typeIddEELj256ELj7ELj100EEvPKT0_PKjPS4_.num_named_barrier, 0
	.set _Z6kernelI23warp_striped_to_blockedN15benchmark_utils11custom_typeIddEELj256ELj7ELj100EEvPKT0_PKjPS4_.private_seg_size, 0
	.set _Z6kernelI23warp_striped_to_blockedN15benchmark_utils11custom_typeIddEELj256ELj7ELj100EEvPKT0_PKjPS4_.uses_vcc, 0
	.set _Z6kernelI23warp_striped_to_blockedN15benchmark_utils11custom_typeIddEELj256ELj7ELj100EEvPKT0_PKjPS4_.uses_flat_scratch, 0
	.set _Z6kernelI23warp_striped_to_blockedN15benchmark_utils11custom_typeIddEELj256ELj7ELj100EEvPKT0_PKjPS4_.has_dyn_sized_stack, 0
	.set _Z6kernelI23warp_striped_to_blockedN15benchmark_utils11custom_typeIddEELj256ELj7ELj100EEvPKT0_PKjPS4_.has_recursion, 0
	.set _Z6kernelI23warp_striped_to_blockedN15benchmark_utils11custom_typeIddEELj256ELj7ELj100EEvPKT0_PKjPS4_.has_indirect_call, 0
	.section	.AMDGPU.csdata,"",@progbits
; Kernel info:
; codeLenInByte = 520
; TotalNumSgprs: 8
; NumVgprs: 35
; ScratchSize: 0
; MemoryBound: 1
; FloatMode: 240
; IeeeMode: 1
; LDSByteSize: 28672 bytes/workgroup (compile time only)
; SGPRBlocks: 0
; VGPRBlocks: 2
; NumSGPRsForWavesPerEU: 8
; NumVGPRsForWavesPerEU: 35
; NamedBarCnt: 0
; Occupancy: 16
; WaveLimiterHint : 1
; COMPUTE_PGM_RSRC2:SCRATCH_EN: 0
; COMPUTE_PGM_RSRC2:USER_SGPR: 2
; COMPUTE_PGM_RSRC2:TRAP_HANDLER: 0
; COMPUTE_PGM_RSRC2:TGID_X_EN: 1
; COMPUTE_PGM_RSRC2:TGID_Y_EN: 0
; COMPUTE_PGM_RSRC2:TGID_Z_EN: 0
; COMPUTE_PGM_RSRC2:TIDIG_COMP_CNT: 0
	.section	.text._Z6kernelI23warp_striped_to_blockedN15benchmark_utils11custom_typeIddEELj256ELj8ELj100EEvPKT0_PKjPS4_,"axG",@progbits,_Z6kernelI23warp_striped_to_blockedN15benchmark_utils11custom_typeIddEELj256ELj8ELj100EEvPKT0_PKjPS4_,comdat
	.protected	_Z6kernelI23warp_striped_to_blockedN15benchmark_utils11custom_typeIddEELj256ELj8ELj100EEvPKT0_PKjPS4_ ; -- Begin function _Z6kernelI23warp_striped_to_blockedN15benchmark_utils11custom_typeIddEELj256ELj8ELj100EEvPKT0_PKjPS4_
	.globl	_Z6kernelI23warp_striped_to_blockedN15benchmark_utils11custom_typeIddEELj256ELj8ELj100EEvPKT0_PKjPS4_
	.p2align	8
	.type	_Z6kernelI23warp_striped_to_blockedN15benchmark_utils11custom_typeIddEELj256ELj8ELj100EEvPKT0_PKjPS4_,@function
_Z6kernelI23warp_striped_to_blockedN15benchmark_utils11custom_typeIddEELj256ELj8ELj100EEvPKT0_PKjPS4_: ; @_Z6kernelI23warp_striped_to_blockedN15benchmark_utils11custom_typeIddEELj256ELj8ELj100EEvPKT0_PKjPS4_
; %bb.0:
	s_load_b64 s[4:5], s[0:1], 0x0
	s_bfe_u32 s6, ttmp6, 0x4000c
	s_and_b32 s2, ttmp6, 15
	s_add_co_i32 s6, s6, 1
	s_getreg_b32 s7, hwreg(HW_REG_IB_STS2, 6, 4)
	s_mul_i32 s6, ttmp9, s6
	v_mbcnt_lo_u32_b32 v38, -1, 0
	s_add_co_i32 s2, s2, s6
	s_cmp_eq_u32 s7, 0
	v_dual_lshlrev_b32 v1, 3, v0 :: v_dual_mov_b32 v3, 0
	s_cselect_b32 s2, ttmp9, s2
	s_mov_b32 s3, 0
	s_lshl_b32 s2, s2, 11
	s_delay_alu instid0(VALU_DEP_1) | instskip(SKIP_3) | instid1(VALU_DEP_3)
	v_and_b32_e32 v39, 0x600, v1
	v_lshlrev_b32_e32 v2, 4, v38
	s_lshl_b64 s[2:3], s[2:3], 4
	v_and_or_b32 v42, 0xc0, v0, v38
	v_or_b32_e32 v37, 0x80, v39
	s_wait_kmcnt 0x0
	s_add_nc_u64 s[4:5], s[4:5], s[2:3]
	v_or_b32_e32 v40, 0xc0, v39
	v_add_nc_u64_e32 v[4:5], s[4:5], v[2:3]
	v_dual_lshlrev_b32 v2, 4, v39 :: v_dual_bitop2_b32 v36, 64, v39 bitop3:0x54
	v_or_b32_e32 v0, 0x100, v39
	v_lshlrev_b32_e32 v43, 2, v42
	s_movk_i32 s4, 0x64
	s_delay_alu instid0(VALU_DEP_3) | instskip(NEXT) | instid1(VALU_DEP_3)
	v_add_nc_u64_e32 v[34:35], v[4:5], v[2:3]
	v_lshrrev_b32_e32 v0, 1, v0
	s_delay_alu instid0(VALU_DEP_3)
	v_and_b32_e32 v43, 0x370, v43
	s_clause 0x7
	global_load_b128 v[14:17], v[34:35], off
	global_load_b128 v[10:13], v[34:35], off offset:1024
	global_load_b128 v[6:9], v[34:35], off offset:2048
	;; [unrolled: 1-line block ×7, first 2 shown]
	s_wait_xcnt 0x0
	v_or_b32_e32 v35, v38, v39
	v_lshrrev_b16 v34, 1, v39
	v_or_b32_e32 v38, 0x140, v39
	s_delay_alu instid0(VALU_DEP_3)
	v_dual_lshlrev_b32 v41, 4, v35 :: v_dual_lshrrev_b32 v35, 1, v36
	v_dual_lshrrev_b32 v36, 1, v37 :: v_dual_lshrrev_b32 v37, 1, v40
	v_or_b32_e32 v40, 0x180, v39
	v_or_b32_e32 v39, 0x1c0, v39
	v_and_b32_e32 v34, 0xffff, v34
	v_dual_lshrrev_b32 v38, 1, v38 :: v_dual_add_nc_u32 v35, v35, v41
	s_delay_alu instid0(VALU_DEP_3) | instskip(NEXT) | instid1(VALU_DEP_3)
	v_dual_lshrrev_b32 v40, 1, v40 :: v_dual_lshrrev_b32 v44, 1, v39
	v_dual_add_nc_u32 v0, v0, v41 :: v_dual_add_nc_u32 v34, v34, v41
	v_dual_add_nc_u32 v36, v36, v41 :: v_dual_add_nc_u32 v37, v37, v41
	s_delay_alu instid0(VALU_DEP_3) | instskip(NEXT) | instid1(VALU_DEP_4)
	v_dual_add_nc_u32 v38, v38, v41 :: v_dual_add_nc_u32 v39, v40, v41
	v_add_nc_u32_e32 v40, v44, v41
	v_lshl_add_u32 v41, v42, 7, v43
.LBB119_1:                              ; =>This Inner Loop Header: Depth=1
	s_wait_loadcnt 0x7
	ds_store_b128 v34, v[14:17]
	s_wait_loadcnt 0x6
	ds_store_b128 v35, v[10:13] offset:1024
	s_wait_loadcnt 0x5
	ds_store_b128 v36, v[6:9] offset:2048
	;; [unrolled: 2-line block ×7, first 2 shown]
	; wave barrier
	ds_load_b128 v[14:17], v41
	ds_load_b128 v[10:13], v41 offset:16
	ds_load_b128 v[6:9], v41 offset:32
	;; [unrolled: 1-line block ×7, first 2 shown]
	s_add_co_i32 s4, s4, -1
	s_wait_dscnt 0x0
	s_cmp_lg_u32 s4, 0
	s_barrier_signal -1
	s_barrier_wait -1
	s_cbranch_scc1 .LBB119_1
; %bb.2:
	s_load_b64 s[0:1], s[0:1], 0x10
	s_wait_kmcnt 0x0
	s_add_nc_u64 s[0:1], s[0:1], s[2:3]
	s_clause 0x7
	global_store_b128 v1, v[14:17], s[0:1] scale_offset
	global_store_b128 v1, v[10:13], s[0:1] offset:16 scale_offset
	global_store_b128 v1, v[6:9], s[0:1] offset:32 scale_offset
	;; [unrolled: 1-line block ×7, first 2 shown]
	s_endpgm
	.section	.rodata,"a",@progbits
	.p2align	6, 0x0
	.amdhsa_kernel _Z6kernelI23warp_striped_to_blockedN15benchmark_utils11custom_typeIddEELj256ELj8ELj100EEvPKT0_PKjPS4_
		.amdhsa_group_segment_fixed_size 33792
		.amdhsa_private_segment_fixed_size 0
		.amdhsa_kernarg_size 24
		.amdhsa_user_sgpr_count 2
		.amdhsa_user_sgpr_dispatch_ptr 0
		.amdhsa_user_sgpr_queue_ptr 0
		.amdhsa_user_sgpr_kernarg_segment_ptr 1
		.amdhsa_user_sgpr_dispatch_id 0
		.amdhsa_user_sgpr_kernarg_preload_length 0
		.amdhsa_user_sgpr_kernarg_preload_offset 0
		.amdhsa_user_sgpr_private_segment_size 0
		.amdhsa_wavefront_size32 1
		.amdhsa_uses_dynamic_stack 0
		.amdhsa_enable_private_segment 0
		.amdhsa_system_sgpr_workgroup_id_x 1
		.amdhsa_system_sgpr_workgroup_id_y 0
		.amdhsa_system_sgpr_workgroup_id_z 0
		.amdhsa_system_sgpr_workgroup_info 0
		.amdhsa_system_vgpr_workitem_id 0
		.amdhsa_next_free_vgpr 45
		.amdhsa_next_free_sgpr 8
		.amdhsa_named_barrier_count 0
		.amdhsa_reserve_vcc 0
		.amdhsa_float_round_mode_32 0
		.amdhsa_float_round_mode_16_64 0
		.amdhsa_float_denorm_mode_32 3
		.amdhsa_float_denorm_mode_16_64 3
		.amdhsa_fp16_overflow 0
		.amdhsa_memory_ordered 1
		.amdhsa_forward_progress 1
		.amdhsa_inst_pref_size 6
		.amdhsa_round_robin_scheduling 0
		.amdhsa_exception_fp_ieee_invalid_op 0
		.amdhsa_exception_fp_denorm_src 0
		.amdhsa_exception_fp_ieee_div_zero 0
		.amdhsa_exception_fp_ieee_overflow 0
		.amdhsa_exception_fp_ieee_underflow 0
		.amdhsa_exception_fp_ieee_inexact 0
		.amdhsa_exception_int_div_zero 0
	.end_amdhsa_kernel
	.section	.text._Z6kernelI23warp_striped_to_blockedN15benchmark_utils11custom_typeIddEELj256ELj8ELj100EEvPKT0_PKjPS4_,"axG",@progbits,_Z6kernelI23warp_striped_to_blockedN15benchmark_utils11custom_typeIddEELj256ELj8ELj100EEvPKT0_PKjPS4_,comdat
.Lfunc_end119:
	.size	_Z6kernelI23warp_striped_to_blockedN15benchmark_utils11custom_typeIddEELj256ELj8ELj100EEvPKT0_PKjPS4_, .Lfunc_end119-_Z6kernelI23warp_striped_to_blockedN15benchmark_utils11custom_typeIddEELj256ELj8ELj100EEvPKT0_PKjPS4_
                                        ; -- End function
	.set _Z6kernelI23warp_striped_to_blockedN15benchmark_utils11custom_typeIddEELj256ELj8ELj100EEvPKT0_PKjPS4_.num_vgpr, 45
	.set _Z6kernelI23warp_striped_to_blockedN15benchmark_utils11custom_typeIddEELj256ELj8ELj100EEvPKT0_PKjPS4_.num_agpr, 0
	.set _Z6kernelI23warp_striped_to_blockedN15benchmark_utils11custom_typeIddEELj256ELj8ELj100EEvPKT0_PKjPS4_.numbered_sgpr, 8
	.set _Z6kernelI23warp_striped_to_blockedN15benchmark_utils11custom_typeIddEELj256ELj8ELj100EEvPKT0_PKjPS4_.num_named_barrier, 0
	.set _Z6kernelI23warp_striped_to_blockedN15benchmark_utils11custom_typeIddEELj256ELj8ELj100EEvPKT0_PKjPS4_.private_seg_size, 0
	.set _Z6kernelI23warp_striped_to_blockedN15benchmark_utils11custom_typeIddEELj256ELj8ELj100EEvPKT0_PKjPS4_.uses_vcc, 0
	.set _Z6kernelI23warp_striped_to_blockedN15benchmark_utils11custom_typeIddEELj256ELj8ELj100EEvPKT0_PKjPS4_.uses_flat_scratch, 0
	.set _Z6kernelI23warp_striped_to_blockedN15benchmark_utils11custom_typeIddEELj256ELj8ELj100EEvPKT0_PKjPS4_.has_dyn_sized_stack, 0
	.set _Z6kernelI23warp_striped_to_blockedN15benchmark_utils11custom_typeIddEELj256ELj8ELj100EEvPKT0_PKjPS4_.has_recursion, 0
	.set _Z6kernelI23warp_striped_to_blockedN15benchmark_utils11custom_typeIddEELj256ELj8ELj100EEvPKT0_PKjPS4_.has_indirect_call, 0
	.section	.AMDGPU.csdata,"",@progbits
; Kernel info:
; codeLenInByte = 744
; TotalNumSgprs: 8
; NumVgprs: 45
; ScratchSize: 0
; MemoryBound: 0
; FloatMode: 240
; IeeeMode: 1
; LDSByteSize: 33792 bytes/workgroup (compile time only)
; SGPRBlocks: 0
; VGPRBlocks: 2
; NumSGPRsForWavesPerEU: 8
; NumVGPRsForWavesPerEU: 45
; NamedBarCnt: 0
; Occupancy: 16
; WaveLimiterHint : 1
; COMPUTE_PGM_RSRC2:SCRATCH_EN: 0
; COMPUTE_PGM_RSRC2:USER_SGPR: 2
; COMPUTE_PGM_RSRC2:TRAP_HANDLER: 0
; COMPUTE_PGM_RSRC2:TGID_X_EN: 1
; COMPUTE_PGM_RSRC2:TGID_Y_EN: 0
; COMPUTE_PGM_RSRC2:TGID_Z_EN: 0
; COMPUTE_PGM_RSRC2:TIDIG_COMP_CNT: 0
	.section	.text._Z6kernelI18scatter_to_blockediLj256ELj1ELj100EEvPKT0_PKjPS1_,"axG",@progbits,_Z6kernelI18scatter_to_blockediLj256ELj1ELj100EEvPKT0_PKjPS1_,comdat
	.protected	_Z6kernelI18scatter_to_blockediLj256ELj1ELj100EEvPKT0_PKjPS1_ ; -- Begin function _Z6kernelI18scatter_to_blockediLj256ELj1ELj100EEvPKT0_PKjPS1_
	.globl	_Z6kernelI18scatter_to_blockediLj256ELj1ELj100EEvPKT0_PKjPS1_
	.p2align	8
	.type	_Z6kernelI18scatter_to_blockediLj256ELj1ELj100EEvPKT0_PKjPS1_,@function
_Z6kernelI18scatter_to_blockediLj256ELj1ELj100EEvPKT0_PKjPS1_: ; @_Z6kernelI18scatter_to_blockediLj256ELj1ELj100EEvPKT0_PKjPS1_
; %bb.0:
	s_load_b128 s[4:7], s[0:1], 0x0
	s_bfe_u32 s2, ttmp6, 0x4000c
	s_and_b32 s3, ttmp6, 15
	s_add_co_i32 s2, s2, 1
	s_getreg_b32 s8, hwreg(HW_REG_IB_STS2, 6, 4)
	s_mul_i32 s2, ttmp9, s2
	s_wait_xcnt 0x0
	s_load_b64 s[0:1], s[0:1], 0x10
	s_add_co_i32 s3, s3, s2
	s_cmp_eq_u32 s8, 0
	v_lshlrev_b32_e32 v3, 2, v0
	s_cselect_b32 s2, ttmp9, s3
	s_mov_b32 s3, 0
	s_lshl_b32 s2, s2, 8
	s_delay_alu instid0(SALU_CYCLE_1)
	s_lshl_b64 s[2:3], s[2:3], 2
	s_wait_kmcnt 0x0
	s_add_nc_u64 s[6:7], s[6:7], s[2:3]
	s_add_nc_u64 s[4:5], s[4:5], s[2:3]
	s_clause 0x1
	global_load_b32 v2, v0, s[6:7] scale_offset
	global_load_b32 v1, v0, s[4:5] scale_offset
	s_wait_xcnt 0x0
	s_movk_i32 s4, 0x64
	s_wait_loadcnt 0x1
	v_lshlrev_b32_e32 v2, 2, v2
.LBB120_1:                              ; =>This Inner Loop Header: Depth=1
	s_wait_loadcnt 0x0
	ds_store_b32 v2, v1
	s_wait_dscnt 0x0
	s_barrier_signal -1
	s_barrier_wait -1
	ds_load_b32 v1, v3
	s_add_co_i32 s4, s4, -1
	s_wait_dscnt 0x0
	s_cmp_lg_u32 s4, 0
	s_barrier_signal -1
	s_barrier_wait -1
	s_cbranch_scc1 .LBB120_1
; %bb.2:
	s_add_nc_u64 s[0:1], s[0:1], s[2:3]
	global_store_b32 v0, v1, s[0:1] scale_offset
	s_endpgm
	.section	.rodata,"a",@progbits
	.p2align	6, 0x0
	.amdhsa_kernel _Z6kernelI18scatter_to_blockediLj256ELj1ELj100EEvPKT0_PKjPS1_
		.amdhsa_group_segment_fixed_size 1024
		.amdhsa_private_segment_fixed_size 0
		.amdhsa_kernarg_size 24
		.amdhsa_user_sgpr_count 2
		.amdhsa_user_sgpr_dispatch_ptr 0
		.amdhsa_user_sgpr_queue_ptr 0
		.amdhsa_user_sgpr_kernarg_segment_ptr 1
		.amdhsa_user_sgpr_dispatch_id 0
		.amdhsa_user_sgpr_kernarg_preload_length 0
		.amdhsa_user_sgpr_kernarg_preload_offset 0
		.amdhsa_user_sgpr_private_segment_size 0
		.amdhsa_wavefront_size32 1
		.amdhsa_uses_dynamic_stack 0
		.amdhsa_enable_private_segment 0
		.amdhsa_system_sgpr_workgroup_id_x 1
		.amdhsa_system_sgpr_workgroup_id_y 0
		.amdhsa_system_sgpr_workgroup_id_z 0
		.amdhsa_system_sgpr_workgroup_info 0
		.amdhsa_system_vgpr_workitem_id 0
		.amdhsa_next_free_vgpr 4
		.amdhsa_next_free_sgpr 9
		.amdhsa_named_barrier_count 0
		.amdhsa_reserve_vcc 0
		.amdhsa_float_round_mode_32 0
		.amdhsa_float_round_mode_16_64 0
		.amdhsa_float_denorm_mode_32 3
		.amdhsa_float_denorm_mode_16_64 3
		.amdhsa_fp16_overflow 0
		.amdhsa_memory_ordered 1
		.amdhsa_forward_progress 1
		.amdhsa_inst_pref_size 2
		.amdhsa_round_robin_scheduling 0
		.amdhsa_exception_fp_ieee_invalid_op 0
		.amdhsa_exception_fp_denorm_src 0
		.amdhsa_exception_fp_ieee_div_zero 0
		.amdhsa_exception_fp_ieee_overflow 0
		.amdhsa_exception_fp_ieee_underflow 0
		.amdhsa_exception_fp_ieee_inexact 0
		.amdhsa_exception_int_div_zero 0
	.end_amdhsa_kernel
	.section	.text._Z6kernelI18scatter_to_blockediLj256ELj1ELj100EEvPKT0_PKjPS1_,"axG",@progbits,_Z6kernelI18scatter_to_blockediLj256ELj1ELj100EEvPKT0_PKjPS1_,comdat
.Lfunc_end120:
	.size	_Z6kernelI18scatter_to_blockediLj256ELj1ELj100EEvPKT0_PKjPS1_, .Lfunc_end120-_Z6kernelI18scatter_to_blockediLj256ELj1ELj100EEvPKT0_PKjPS1_
                                        ; -- End function
	.set _Z6kernelI18scatter_to_blockediLj256ELj1ELj100EEvPKT0_PKjPS1_.num_vgpr, 4
	.set _Z6kernelI18scatter_to_blockediLj256ELj1ELj100EEvPKT0_PKjPS1_.num_agpr, 0
	.set _Z6kernelI18scatter_to_blockediLj256ELj1ELj100EEvPKT0_PKjPS1_.numbered_sgpr, 9
	.set _Z6kernelI18scatter_to_blockediLj256ELj1ELj100EEvPKT0_PKjPS1_.num_named_barrier, 0
	.set _Z6kernelI18scatter_to_blockediLj256ELj1ELj100EEvPKT0_PKjPS1_.private_seg_size, 0
	.set _Z6kernelI18scatter_to_blockediLj256ELj1ELj100EEvPKT0_PKjPS1_.uses_vcc, 0
	.set _Z6kernelI18scatter_to_blockediLj256ELj1ELj100EEvPKT0_PKjPS1_.uses_flat_scratch, 0
	.set _Z6kernelI18scatter_to_blockediLj256ELj1ELj100EEvPKT0_PKjPS1_.has_dyn_sized_stack, 0
	.set _Z6kernelI18scatter_to_blockediLj256ELj1ELj100EEvPKT0_PKjPS1_.has_recursion, 0
	.set _Z6kernelI18scatter_to_blockediLj256ELj1ELj100EEvPKT0_PKjPS1_.has_indirect_call, 0
	.section	.AMDGPU.csdata,"",@progbits
; Kernel info:
; codeLenInByte = 208
; TotalNumSgprs: 9
; NumVgprs: 4
; ScratchSize: 0
; MemoryBound: 0
; FloatMode: 240
; IeeeMode: 1
; LDSByteSize: 1024 bytes/workgroup (compile time only)
; SGPRBlocks: 0
; VGPRBlocks: 0
; NumSGPRsForWavesPerEU: 9
; NumVGPRsForWavesPerEU: 4
; NamedBarCnt: 0
; Occupancy: 16
; WaveLimiterHint : 0
; COMPUTE_PGM_RSRC2:SCRATCH_EN: 0
; COMPUTE_PGM_RSRC2:USER_SGPR: 2
; COMPUTE_PGM_RSRC2:TRAP_HANDLER: 0
; COMPUTE_PGM_RSRC2:TGID_X_EN: 1
; COMPUTE_PGM_RSRC2:TGID_Y_EN: 0
; COMPUTE_PGM_RSRC2:TGID_Z_EN: 0
; COMPUTE_PGM_RSRC2:TIDIG_COMP_CNT: 0
	.section	.text._Z6kernelI18scatter_to_blockediLj256ELj2ELj100EEvPKT0_PKjPS1_,"axG",@progbits,_Z6kernelI18scatter_to_blockediLj256ELj2ELj100EEvPKT0_PKjPS1_,comdat
	.protected	_Z6kernelI18scatter_to_blockediLj256ELj2ELj100EEvPKT0_PKjPS1_ ; -- Begin function _Z6kernelI18scatter_to_blockediLj256ELj2ELj100EEvPKT0_PKjPS1_
	.globl	_Z6kernelI18scatter_to_blockediLj256ELj2ELj100EEvPKT0_PKjPS1_
	.p2align	8
	.type	_Z6kernelI18scatter_to_blockediLj256ELj2ELj100EEvPKT0_PKjPS1_,@function
_Z6kernelI18scatter_to_blockediLj256ELj2ELj100EEvPKT0_PKjPS1_: ; @_Z6kernelI18scatter_to_blockediLj256ELj2ELj100EEvPKT0_PKjPS1_
; %bb.0:
	s_load_b128 s[4:7], s[0:1], 0x0
	s_bfe_u32 s2, ttmp6, 0x4000c
	s_and_b32 s3, ttmp6, 15
	s_add_co_i32 s2, s2, 1
	s_getreg_b32 s8, hwreg(HW_REG_IB_STS2, 6, 4)
	s_mul_i32 s2, ttmp9, s2
	s_wait_xcnt 0x0
	s_load_b64 s[0:1], s[0:1], 0x10
	s_add_co_i32 s3, s3, s2
	s_cmp_eq_u32 s8, 0
	v_lshrrev_b32_e32 v7, 2, v0
	s_cselect_b32 s2, ttmp9, s3
	s_mov_b32 s3, 0
	s_lshl_b32 s2, s2, 9
	s_delay_alu instid0(SALU_CYCLE_1)
	s_lshl_b64 s[2:3], s[2:3], 2
	s_wait_kmcnt 0x0
	s_add_nc_u64 s[6:7], s[6:7], s[2:3]
	s_add_nc_u64 s[4:5], s[4:5], s[2:3]
	s_clause 0x3
	global_load_b32 v4, v0, s[6:7] scale_offset
	global_load_b32 v5, v0, s[6:7] offset:1024 scale_offset
	global_load_b32 v2, v0, s[4:5] scale_offset
	global_load_b32 v3, v0, s[4:5] offset:1024 scale_offset
	s_wait_xcnt 0x0
	s_movk_i32 s4, 0x64
	s_wait_loadcnt 0x2
	v_dual_lshrrev_b32 v1, 3, v4 :: v_dual_lshrrev_b32 v6, 3, v5
	s_delay_alu instid0(VALU_DEP_1) | instskip(NEXT) | instid1(VALU_DEP_2)
	v_and_b32_e32 v8, 0x1ffffffc, v1
	v_and_b32_e32 v6, 0x1ffffffc, v6
	v_dual_lshlrev_b32 v1, 1, v0 :: v_dual_bitop2_b32 v7, 60, v7 bitop3:0x40
	s_delay_alu instid0(VALU_DEP_3) | instskip(NEXT) | instid1(VALU_DEP_3)
	v_lshl_add_u32 v4, v4, 2, v8
	v_lshl_add_u32 v5, v5, 2, v6
	s_delay_alu instid0(VALU_DEP_3)
	v_lshl_add_u32 v0, v0, 3, v7
.LBB121_1:                              ; =>This Inner Loop Header: Depth=1
	s_wait_loadcnt 0x1
	ds_store_b32 v4, v2
	s_wait_loadcnt 0x0
	ds_store_b32 v5, v3
	s_wait_dscnt 0x0
	s_barrier_signal -1
	s_barrier_wait -1
	ds_load_2addr_b32 v[2:3], v0 offset1:1
	s_add_co_i32 s4, s4, -1
	s_wait_dscnt 0x0
	s_cmp_lg_u32 s4, 0
	s_barrier_signal -1
	s_barrier_wait -1
	s_cbranch_scc1 .LBB121_1
; %bb.2:
	v_lshlrev_b32_e32 v0, 2, v1
	s_add_nc_u64 s[0:1], s[0:1], s[2:3]
	global_store_b64 v0, v[2:3], s[0:1]
	s_endpgm
	.section	.rodata,"a",@progbits
	.p2align	6, 0x0
	.amdhsa_kernel _Z6kernelI18scatter_to_blockediLj256ELj2ELj100EEvPKT0_PKjPS1_
		.amdhsa_group_segment_fixed_size 2112
		.amdhsa_private_segment_fixed_size 0
		.amdhsa_kernarg_size 24
		.amdhsa_user_sgpr_count 2
		.amdhsa_user_sgpr_dispatch_ptr 0
		.amdhsa_user_sgpr_queue_ptr 0
		.amdhsa_user_sgpr_kernarg_segment_ptr 1
		.amdhsa_user_sgpr_dispatch_id 0
		.amdhsa_user_sgpr_kernarg_preload_length 0
		.amdhsa_user_sgpr_kernarg_preload_offset 0
		.amdhsa_user_sgpr_private_segment_size 0
		.amdhsa_wavefront_size32 1
		.amdhsa_uses_dynamic_stack 0
		.amdhsa_enable_private_segment 0
		.amdhsa_system_sgpr_workgroup_id_x 1
		.amdhsa_system_sgpr_workgroup_id_y 0
		.amdhsa_system_sgpr_workgroup_id_z 0
		.amdhsa_system_sgpr_workgroup_info 0
		.amdhsa_system_vgpr_workitem_id 0
		.amdhsa_next_free_vgpr 9
		.amdhsa_next_free_sgpr 9
		.amdhsa_named_barrier_count 0
		.amdhsa_reserve_vcc 0
		.amdhsa_float_round_mode_32 0
		.amdhsa_float_round_mode_16_64 0
		.amdhsa_float_denorm_mode_32 3
		.amdhsa_float_denorm_mode_16_64 3
		.amdhsa_fp16_overflow 0
		.amdhsa_memory_ordered 1
		.amdhsa_forward_progress 1
		.amdhsa_inst_pref_size 3
		.amdhsa_round_robin_scheduling 0
		.amdhsa_exception_fp_ieee_invalid_op 0
		.amdhsa_exception_fp_denorm_src 0
		.amdhsa_exception_fp_ieee_div_zero 0
		.amdhsa_exception_fp_ieee_overflow 0
		.amdhsa_exception_fp_ieee_underflow 0
		.amdhsa_exception_fp_ieee_inexact 0
		.amdhsa_exception_int_div_zero 0
	.end_amdhsa_kernel
	.section	.text._Z6kernelI18scatter_to_blockediLj256ELj2ELj100EEvPKT0_PKjPS1_,"axG",@progbits,_Z6kernelI18scatter_to_blockediLj256ELj2ELj100EEvPKT0_PKjPS1_,comdat
.Lfunc_end121:
	.size	_Z6kernelI18scatter_to_blockediLj256ELj2ELj100EEvPKT0_PKjPS1_, .Lfunc_end121-_Z6kernelI18scatter_to_blockediLj256ELj2ELj100EEvPKT0_PKjPS1_
                                        ; -- End function
	.set _Z6kernelI18scatter_to_blockediLj256ELj2ELj100EEvPKT0_PKjPS1_.num_vgpr, 9
	.set _Z6kernelI18scatter_to_blockediLj256ELj2ELj100EEvPKT0_PKjPS1_.num_agpr, 0
	.set _Z6kernelI18scatter_to_blockediLj256ELj2ELj100EEvPKT0_PKjPS1_.numbered_sgpr, 9
	.set _Z6kernelI18scatter_to_blockediLj256ELj2ELj100EEvPKT0_PKjPS1_.num_named_barrier, 0
	.set _Z6kernelI18scatter_to_blockediLj256ELj2ELj100EEvPKT0_PKjPS1_.private_seg_size, 0
	.set _Z6kernelI18scatter_to_blockediLj256ELj2ELj100EEvPKT0_PKjPS1_.uses_vcc, 0
	.set _Z6kernelI18scatter_to_blockediLj256ELj2ELj100EEvPKT0_PKjPS1_.uses_flat_scratch, 0
	.set _Z6kernelI18scatter_to_blockediLj256ELj2ELj100EEvPKT0_PKjPS1_.has_dyn_sized_stack, 0
	.set _Z6kernelI18scatter_to_blockediLj256ELj2ELj100EEvPKT0_PKjPS1_.has_recursion, 0
	.set _Z6kernelI18scatter_to_blockediLj256ELj2ELj100EEvPKT0_PKjPS1_.has_indirect_call, 0
	.section	.AMDGPU.csdata,"",@progbits
; Kernel info:
; codeLenInByte = 320
; TotalNumSgprs: 9
; NumVgprs: 9
; ScratchSize: 0
; MemoryBound: 0
; FloatMode: 240
; IeeeMode: 1
; LDSByteSize: 2112 bytes/workgroup (compile time only)
; SGPRBlocks: 0
; VGPRBlocks: 0
; NumSGPRsForWavesPerEU: 9
; NumVGPRsForWavesPerEU: 9
; NamedBarCnt: 0
; Occupancy: 16
; WaveLimiterHint : 1
; COMPUTE_PGM_RSRC2:SCRATCH_EN: 0
; COMPUTE_PGM_RSRC2:USER_SGPR: 2
; COMPUTE_PGM_RSRC2:TRAP_HANDLER: 0
; COMPUTE_PGM_RSRC2:TGID_X_EN: 1
; COMPUTE_PGM_RSRC2:TGID_Y_EN: 0
; COMPUTE_PGM_RSRC2:TGID_Z_EN: 0
; COMPUTE_PGM_RSRC2:TIDIG_COMP_CNT: 0
	.section	.text._Z6kernelI18scatter_to_blockediLj256ELj3ELj100EEvPKT0_PKjPS1_,"axG",@progbits,_Z6kernelI18scatter_to_blockediLj256ELj3ELj100EEvPKT0_PKjPS1_,comdat
	.protected	_Z6kernelI18scatter_to_blockediLj256ELj3ELj100EEvPKT0_PKjPS1_ ; -- Begin function _Z6kernelI18scatter_to_blockediLj256ELj3ELj100EEvPKT0_PKjPS1_
	.globl	_Z6kernelI18scatter_to_blockediLj256ELj3ELj100EEvPKT0_PKjPS1_
	.p2align	8
	.type	_Z6kernelI18scatter_to_blockediLj256ELj3ELj100EEvPKT0_PKjPS1_,@function
_Z6kernelI18scatter_to_blockediLj256ELj3ELj100EEvPKT0_PKjPS1_: ; @_Z6kernelI18scatter_to_blockediLj256ELj3ELj100EEvPKT0_PKjPS1_
; %bb.0:
	s_load_b128 s[4:7], s[0:1], 0x0
	s_bfe_u32 s2, ttmp6, 0x4000c
	s_and_b32 s3, ttmp6, 15
	s_add_co_i32 s2, s2, 1
	s_getreg_b32 s8, hwreg(HW_REG_IB_STS2, 6, 4)
	s_mul_i32 s2, ttmp9, s2
	s_wait_xcnt 0x0
	s_load_b64 s[0:1], s[0:1], 0x10
	s_add_co_i32 s3, s3, s2
	s_cmp_eq_u32 s8, 0
	s_cselect_b32 s2, ttmp9, s3
	s_mov_b32 s3, 0
	s_mulk_i32 s2, 0x300
	s_delay_alu instid0(SALU_CYCLE_1)
	s_lshl_b64 s[2:3], s[2:3], 2
	s_wait_kmcnt 0x0
	s_add_nc_u64 s[6:7], s[6:7], s[2:3]
	s_add_nc_u64 s[4:5], s[4:5], s[2:3]
	s_clause 0x5
	global_load_b32 v1, v0, s[6:7] scale_offset
	global_load_b32 v5, v0, s[6:7] offset:1024 scale_offset
	global_load_b32 v6, v0, s[6:7] offset:2048 scale_offset
	global_load_b32 v2, v0, s[4:5] scale_offset
	global_load_b32 v3, v0, s[4:5] offset:1024 scale_offset
	global_load_b32 v4, v0, s[4:5] offset:2048 scale_offset
	s_wait_xcnt 0x0
	v_mul_u32_u24_e32 v0, 3, v0
	s_movk_i32 s4, 0x64
	s_wait_loadcnt 0x5
	s_delay_alu instid0(VALU_DEP_1)
	v_dual_lshlrev_b32 v0, 2, v0 :: v_dual_lshlrev_b32 v1, 2, v1
	s_wait_loadcnt 0x3
	v_dual_lshlrev_b32 v5, 2, v5 :: v_dual_lshlrev_b32 v6, 2, v6
.LBB122_1:                              ; =>This Inner Loop Header: Depth=1
	s_wait_loadcnt 0x2
	ds_store_b32 v1, v2
	s_wait_loadcnt 0x1
	ds_store_b32 v5, v3
	s_wait_loadcnt 0x0
	ds_store_b32 v6, v4
	s_wait_dscnt 0x0
	s_barrier_signal -1
	s_barrier_wait -1
	ds_load_2addr_b32 v[2:3], v0 offset1:1
	ds_load_b32 v4, v0 offset:8
	s_add_co_i32 s4, s4, -1
	s_wait_dscnt 0x0
	s_cmp_lg_u32 s4, 0
	s_barrier_signal -1
	s_barrier_wait -1
	s_cbranch_scc1 .LBB122_1
; %bb.2:
	s_add_nc_u64 s[0:1], s[0:1], s[2:3]
	global_store_b96 v0, v[2:4], s[0:1]
	s_endpgm
	.section	.rodata,"a",@progbits
	.p2align	6, 0x0
	.amdhsa_kernel _Z6kernelI18scatter_to_blockediLj256ELj3ELj100EEvPKT0_PKjPS1_
		.amdhsa_group_segment_fixed_size 3072
		.amdhsa_private_segment_fixed_size 0
		.amdhsa_kernarg_size 24
		.amdhsa_user_sgpr_count 2
		.amdhsa_user_sgpr_dispatch_ptr 0
		.amdhsa_user_sgpr_queue_ptr 0
		.amdhsa_user_sgpr_kernarg_segment_ptr 1
		.amdhsa_user_sgpr_dispatch_id 0
		.amdhsa_user_sgpr_kernarg_preload_length 0
		.amdhsa_user_sgpr_kernarg_preload_offset 0
		.amdhsa_user_sgpr_private_segment_size 0
		.amdhsa_wavefront_size32 1
		.amdhsa_uses_dynamic_stack 0
		.amdhsa_enable_private_segment 0
		.amdhsa_system_sgpr_workgroup_id_x 1
		.amdhsa_system_sgpr_workgroup_id_y 0
		.amdhsa_system_sgpr_workgroup_id_z 0
		.amdhsa_system_sgpr_workgroup_info 0
		.amdhsa_system_vgpr_workitem_id 0
		.amdhsa_next_free_vgpr 7
		.amdhsa_next_free_sgpr 9
		.amdhsa_named_barrier_count 0
		.amdhsa_reserve_vcc 0
		.amdhsa_float_round_mode_32 0
		.amdhsa_float_round_mode_16_64 0
		.amdhsa_float_denorm_mode_32 3
		.amdhsa_float_denorm_mode_16_64 3
		.amdhsa_fp16_overflow 0
		.amdhsa_memory_ordered 1
		.amdhsa_forward_progress 1
		.amdhsa_inst_pref_size 3
		.amdhsa_round_robin_scheduling 0
		.amdhsa_exception_fp_ieee_invalid_op 0
		.amdhsa_exception_fp_denorm_src 0
		.amdhsa_exception_fp_ieee_div_zero 0
		.amdhsa_exception_fp_ieee_overflow 0
		.amdhsa_exception_fp_ieee_underflow 0
		.amdhsa_exception_fp_ieee_inexact 0
		.amdhsa_exception_int_div_zero 0
	.end_amdhsa_kernel
	.section	.text._Z6kernelI18scatter_to_blockediLj256ELj3ELj100EEvPKT0_PKjPS1_,"axG",@progbits,_Z6kernelI18scatter_to_blockediLj256ELj3ELj100EEvPKT0_PKjPS1_,comdat
.Lfunc_end122:
	.size	_Z6kernelI18scatter_to_blockediLj256ELj3ELj100EEvPKT0_PKjPS1_, .Lfunc_end122-_Z6kernelI18scatter_to_blockediLj256ELj3ELj100EEvPKT0_PKjPS1_
                                        ; -- End function
	.set _Z6kernelI18scatter_to_blockediLj256ELj3ELj100EEvPKT0_PKjPS1_.num_vgpr, 7
	.set _Z6kernelI18scatter_to_blockediLj256ELj3ELj100EEvPKT0_PKjPS1_.num_agpr, 0
	.set _Z6kernelI18scatter_to_blockediLj256ELj3ELj100EEvPKT0_PKjPS1_.numbered_sgpr, 9
	.set _Z6kernelI18scatter_to_blockediLj256ELj3ELj100EEvPKT0_PKjPS1_.num_named_barrier, 0
	.set _Z6kernelI18scatter_to_blockediLj256ELj3ELj100EEvPKT0_PKjPS1_.private_seg_size, 0
	.set _Z6kernelI18scatter_to_blockediLj256ELj3ELj100EEvPKT0_PKjPS1_.uses_vcc, 0
	.set _Z6kernelI18scatter_to_blockediLj256ELj3ELj100EEvPKT0_PKjPS1_.uses_flat_scratch, 0
	.set _Z6kernelI18scatter_to_blockediLj256ELj3ELj100EEvPKT0_PKjPS1_.has_dyn_sized_stack, 0
	.set _Z6kernelI18scatter_to_blockediLj256ELj3ELj100EEvPKT0_PKjPS1_.has_recursion, 0
	.set _Z6kernelI18scatter_to_blockediLj256ELj3ELj100EEvPKT0_PKjPS1_.has_indirect_call, 0
	.section	.AMDGPU.csdata,"",@progbits
; Kernel info:
; codeLenInByte = 316
; TotalNumSgprs: 9
; NumVgprs: 7
; ScratchSize: 0
; MemoryBound: 0
; FloatMode: 240
; IeeeMode: 1
; LDSByteSize: 3072 bytes/workgroup (compile time only)
; SGPRBlocks: 0
; VGPRBlocks: 0
; NumSGPRsForWavesPerEU: 9
; NumVGPRsForWavesPerEU: 7
; NamedBarCnt: 0
; Occupancy: 16
; WaveLimiterHint : 1
; COMPUTE_PGM_RSRC2:SCRATCH_EN: 0
; COMPUTE_PGM_RSRC2:USER_SGPR: 2
; COMPUTE_PGM_RSRC2:TRAP_HANDLER: 0
; COMPUTE_PGM_RSRC2:TGID_X_EN: 1
; COMPUTE_PGM_RSRC2:TGID_Y_EN: 0
; COMPUTE_PGM_RSRC2:TGID_Z_EN: 0
; COMPUTE_PGM_RSRC2:TIDIG_COMP_CNT: 0
	.section	.text._Z6kernelI18scatter_to_blockediLj256ELj4ELj100EEvPKT0_PKjPS1_,"axG",@progbits,_Z6kernelI18scatter_to_blockediLj256ELj4ELj100EEvPKT0_PKjPS1_,comdat
	.protected	_Z6kernelI18scatter_to_blockediLj256ELj4ELj100EEvPKT0_PKjPS1_ ; -- Begin function _Z6kernelI18scatter_to_blockediLj256ELj4ELj100EEvPKT0_PKjPS1_
	.globl	_Z6kernelI18scatter_to_blockediLj256ELj4ELj100EEvPKT0_PKjPS1_
	.p2align	8
	.type	_Z6kernelI18scatter_to_blockediLj256ELj4ELj100EEvPKT0_PKjPS1_,@function
_Z6kernelI18scatter_to_blockediLj256ELj4ELj100EEvPKT0_PKjPS1_: ; @_Z6kernelI18scatter_to_blockediLj256ELj4ELj100EEvPKT0_PKjPS1_
; %bb.0:
	s_load_b128 s[4:7], s[0:1], 0x0
	s_bfe_u32 s2, ttmp6, 0x4000c
	s_and_b32 s3, ttmp6, 15
	s_add_co_i32 s2, s2, 1
	s_getreg_b32 s8, hwreg(HW_REG_IB_STS2, 6, 4)
	s_mul_i32 s2, ttmp9, s2
	s_wait_xcnt 0x0
	s_load_b64 s[0:1], s[0:1], 0x10
	s_add_co_i32 s3, s3, s2
	s_cmp_eq_u32 s8, 0
	v_lshrrev_b32_e32 v14, 1, v0
	s_cselect_b32 s2, ttmp9, s3
	s_mov_b32 s3, 0
	s_lshl_b32 s2, s2, 10
	s_delay_alu instid0(SALU_CYCLE_1)
	s_lshl_b64 s[2:3], s[2:3], 2
	v_and_b32_e32 v14, 0x7c, v14
	s_wait_kmcnt 0x0
	s_add_nc_u64 s[6:7], s[6:7], s[2:3]
	s_clause 0x3
	global_load_b32 v6, v0, s[6:7] scale_offset
	global_load_b32 v7, v0, s[6:7] offset:1024 scale_offset
	global_load_b32 v8, v0, s[6:7] offset:2048 scale_offset
	;; [unrolled: 1-line block ×3, first 2 shown]
	s_add_nc_u64 s[4:5], s[4:5], s[2:3]
	s_clause 0x3
	global_load_b32 v2, v0, s[4:5] scale_offset
	global_load_b32 v3, v0, s[4:5] offset:1024 scale_offset
	global_load_b32 v4, v0, s[4:5] offset:2048 scale_offset
	global_load_b32 v5, v0, s[4:5] offset:3072 scale_offset
	v_lshlrev_b32_e32 v1, 2, v0
	s_wait_xcnt 0x0
	s_movk_i32 s4, 0x64
	v_lshl_add_u32 v0, v0, 4, v14
	s_wait_loadcnt 0x6
	v_dual_lshrrev_b32 v10, 3, v6 :: v_dual_lshrrev_b32 v11, 3, v7
	s_wait_loadcnt 0x4
	v_dual_lshrrev_b32 v12, 3, v8 :: v_dual_lshrrev_b32 v13, 3, v9
	s_delay_alu instid0(VALU_DEP_2) | instskip(NEXT) | instid1(VALU_DEP_3)
	v_and_b32_e32 v10, 0x1ffffffc, v10
	v_and_b32_e32 v11, 0x1ffffffc, v11
	s_delay_alu instid0(VALU_DEP_3) | instskip(NEXT) | instid1(VALU_DEP_4)
	v_and_b32_e32 v12, 0x1ffffffc, v12
	v_and_b32_e32 v13, 0x1ffffffc, v13
	s_delay_alu instid0(VALU_DEP_4) | instskip(NEXT) | instid1(VALU_DEP_4)
	v_lshl_add_u32 v6, v6, 2, v10
	v_lshl_add_u32 v7, v7, 2, v11
	s_delay_alu instid0(VALU_DEP_4) | instskip(NEXT) | instid1(VALU_DEP_4)
	v_lshl_add_u32 v8, v8, 2, v12
	v_lshl_add_u32 v9, v9, 2, v13
.LBB123_1:                              ; =>This Inner Loop Header: Depth=1
	s_wait_loadcnt 0x3
	ds_store_b32 v6, v2
	s_wait_loadcnt 0x2
	ds_store_b32 v7, v3
	;; [unrolled: 2-line block ×4, first 2 shown]
	s_wait_dscnt 0x0
	s_barrier_signal -1
	s_barrier_wait -1
	ds_load_2addr_b32 v[2:3], v0 offset1:1
	ds_load_2addr_b32 v[4:5], v0 offset0:2 offset1:3
	s_add_co_i32 s4, s4, -1
	s_wait_dscnt 0x0
	s_cmp_lg_u32 s4, 0
	s_barrier_signal -1
	s_barrier_wait -1
	s_cbranch_scc1 .LBB123_1
; %bb.2:
	v_lshlrev_b32_e32 v0, 2, v1
	s_add_nc_u64 s[0:1], s[0:1], s[2:3]
	global_store_b128 v0, v[2:5], s[0:1]
	s_endpgm
	.section	.rodata,"a",@progbits
	.p2align	6, 0x0
	.amdhsa_kernel _Z6kernelI18scatter_to_blockediLj256ELj4ELj100EEvPKT0_PKjPS1_
		.amdhsa_group_segment_fixed_size 4224
		.amdhsa_private_segment_fixed_size 0
		.amdhsa_kernarg_size 24
		.amdhsa_user_sgpr_count 2
		.amdhsa_user_sgpr_dispatch_ptr 0
		.amdhsa_user_sgpr_queue_ptr 0
		.amdhsa_user_sgpr_kernarg_segment_ptr 1
		.amdhsa_user_sgpr_dispatch_id 0
		.amdhsa_user_sgpr_kernarg_preload_length 0
		.amdhsa_user_sgpr_kernarg_preload_offset 0
		.amdhsa_user_sgpr_private_segment_size 0
		.amdhsa_wavefront_size32 1
		.amdhsa_uses_dynamic_stack 0
		.amdhsa_enable_private_segment 0
		.amdhsa_system_sgpr_workgroup_id_x 1
		.amdhsa_system_sgpr_workgroup_id_y 0
		.amdhsa_system_sgpr_workgroup_id_z 0
		.amdhsa_system_sgpr_workgroup_info 0
		.amdhsa_system_vgpr_workitem_id 0
		.amdhsa_next_free_vgpr 15
		.amdhsa_next_free_sgpr 9
		.amdhsa_named_barrier_count 0
		.amdhsa_reserve_vcc 0
		.amdhsa_float_round_mode_32 0
		.amdhsa_float_round_mode_16_64 0
		.amdhsa_float_denorm_mode_32 3
		.amdhsa_float_denorm_mode_16_64 3
		.amdhsa_fp16_overflow 0
		.amdhsa_memory_ordered 1
		.amdhsa_forward_progress 1
		.amdhsa_inst_pref_size 4
		.amdhsa_round_robin_scheduling 0
		.amdhsa_exception_fp_ieee_invalid_op 0
		.amdhsa_exception_fp_denorm_src 0
		.amdhsa_exception_fp_ieee_div_zero 0
		.amdhsa_exception_fp_ieee_overflow 0
		.amdhsa_exception_fp_ieee_underflow 0
		.amdhsa_exception_fp_ieee_inexact 0
		.amdhsa_exception_int_div_zero 0
	.end_amdhsa_kernel
	.section	.text._Z6kernelI18scatter_to_blockediLj256ELj4ELj100EEvPKT0_PKjPS1_,"axG",@progbits,_Z6kernelI18scatter_to_blockediLj256ELj4ELj100EEvPKT0_PKjPS1_,comdat
.Lfunc_end123:
	.size	_Z6kernelI18scatter_to_blockediLj256ELj4ELj100EEvPKT0_PKjPS1_, .Lfunc_end123-_Z6kernelI18scatter_to_blockediLj256ELj4ELj100EEvPKT0_PKjPS1_
                                        ; -- End function
	.set _Z6kernelI18scatter_to_blockediLj256ELj4ELj100EEvPKT0_PKjPS1_.num_vgpr, 15
	.set _Z6kernelI18scatter_to_blockediLj256ELj4ELj100EEvPKT0_PKjPS1_.num_agpr, 0
	.set _Z6kernelI18scatter_to_blockediLj256ELj4ELj100EEvPKT0_PKjPS1_.numbered_sgpr, 9
	.set _Z6kernelI18scatter_to_blockediLj256ELj4ELj100EEvPKT0_PKjPS1_.num_named_barrier, 0
	.set _Z6kernelI18scatter_to_blockediLj256ELj4ELj100EEvPKT0_PKjPS1_.private_seg_size, 0
	.set _Z6kernelI18scatter_to_blockediLj256ELj4ELj100EEvPKT0_PKjPS1_.uses_vcc, 0
	.set _Z6kernelI18scatter_to_blockediLj256ELj4ELj100EEvPKT0_PKjPS1_.uses_flat_scratch, 0
	.set _Z6kernelI18scatter_to_blockediLj256ELj4ELj100EEvPKT0_PKjPS1_.has_dyn_sized_stack, 0
	.set _Z6kernelI18scatter_to_blockediLj256ELj4ELj100EEvPKT0_PKjPS1_.has_recursion, 0
	.set _Z6kernelI18scatter_to_blockediLj256ELj4ELj100EEvPKT0_PKjPS1_.has_indirect_call, 0
	.section	.AMDGPU.csdata,"",@progbits
; Kernel info:
; codeLenInByte = 456
; TotalNumSgprs: 9
; NumVgprs: 15
; ScratchSize: 0
; MemoryBound: 0
; FloatMode: 240
; IeeeMode: 1
; LDSByteSize: 4224 bytes/workgroup (compile time only)
; SGPRBlocks: 0
; VGPRBlocks: 0
; NumSGPRsForWavesPerEU: 9
; NumVGPRsForWavesPerEU: 15
; NamedBarCnt: 0
; Occupancy: 16
; WaveLimiterHint : 1
; COMPUTE_PGM_RSRC2:SCRATCH_EN: 0
; COMPUTE_PGM_RSRC2:USER_SGPR: 2
; COMPUTE_PGM_RSRC2:TRAP_HANDLER: 0
; COMPUTE_PGM_RSRC2:TGID_X_EN: 1
; COMPUTE_PGM_RSRC2:TGID_Y_EN: 0
; COMPUTE_PGM_RSRC2:TGID_Z_EN: 0
; COMPUTE_PGM_RSRC2:TIDIG_COMP_CNT: 0
	.section	.text._Z6kernelI18scatter_to_blockediLj256ELj7ELj100EEvPKT0_PKjPS1_,"axG",@progbits,_Z6kernelI18scatter_to_blockediLj256ELj7ELj100EEvPKT0_PKjPS1_,comdat
	.protected	_Z6kernelI18scatter_to_blockediLj256ELj7ELj100EEvPKT0_PKjPS1_ ; -- Begin function _Z6kernelI18scatter_to_blockediLj256ELj7ELj100EEvPKT0_PKjPS1_
	.globl	_Z6kernelI18scatter_to_blockediLj256ELj7ELj100EEvPKT0_PKjPS1_
	.p2align	8
	.type	_Z6kernelI18scatter_to_blockediLj256ELj7ELj100EEvPKT0_PKjPS1_,@function
_Z6kernelI18scatter_to_blockediLj256ELj7ELj100EEvPKT0_PKjPS1_: ; @_Z6kernelI18scatter_to_blockediLj256ELj7ELj100EEvPKT0_PKjPS1_
; %bb.0:
	s_load_b128 s[4:7], s[0:1], 0x0
	s_bfe_u32 s2, ttmp6, 0x4000c
	s_and_b32 s3, ttmp6, 15
	s_add_co_i32 s2, s2, 1
	s_getreg_b32 s8, hwreg(HW_REG_IB_STS2, 6, 4)
	s_mul_i32 s2, ttmp9, s2
	s_wait_xcnt 0x0
	s_load_b64 s[0:1], s[0:1], 0x10
	s_add_co_i32 s3, s3, s2
	s_cmp_eq_u32 s8, 0
	s_cselect_b32 s2, ttmp9, s3
	s_mov_b32 s3, 0
	s_mulk_i32 s2, 0x700
	s_delay_alu instid0(SALU_CYCLE_1)
	s_lshl_b64 s[2:3], s[2:3], 2
	s_wait_kmcnt 0x0
	s_add_nc_u64 s[6:7], s[6:7], s[2:3]
	s_add_nc_u64 s[4:5], s[4:5], s[2:3]
	s_clause 0xd
	global_load_b32 v1, v0, s[6:7] scale_offset
	global_load_b32 v9, v0, s[6:7] offset:1024 scale_offset
	global_load_b32 v10, v0, s[6:7] offset:2048 scale_offset
	global_load_b32 v11, v0, s[6:7] offset:3072 scale_offset
	global_load_b32 v12, v0, s[6:7] offset:4096 scale_offset
	global_load_b32 v13, v0, s[6:7] offset:5120 scale_offset
	global_load_b32 v14, v0, s[6:7] offset:6144 scale_offset
	global_load_b32 v2, v0, s[4:5] scale_offset
	global_load_b32 v3, v0, s[4:5] offset:1024 scale_offset
	global_load_b32 v4, v0, s[4:5] offset:2048 scale_offset
	;; [unrolled: 1-line block ×6, first 2 shown]
	s_wait_xcnt 0x0
	v_mul_u32_u24_e32 v0, 7, v0
	s_movk_i32 s4, 0x64
	s_wait_loadcnt 0xd
	s_delay_alu instid0(VALU_DEP_1)
	v_dual_lshlrev_b32 v0, 2, v0 :: v_dual_lshlrev_b32 v1, 2, v1
	s_wait_loadcnt 0xb
	v_dual_lshlrev_b32 v9, 2, v9 :: v_dual_lshlrev_b32 v10, 2, v10
	s_wait_loadcnt 0x9
	;; [unrolled: 2-line block ×3, first 2 shown]
	v_dual_lshlrev_b32 v13, 2, v13 :: v_dual_lshlrev_b32 v14, 2, v14
.LBB124_1:                              ; =>This Inner Loop Header: Depth=1
	s_wait_loadcnt 0x6
	ds_store_b32 v1, v2
	s_wait_loadcnt 0x5
	ds_store_b32 v9, v3
	;; [unrolled: 2-line block ×7, first 2 shown]
	s_wait_dscnt 0x0
	s_barrier_signal -1
	s_barrier_wait -1
	ds_load_2addr_b32 v[2:3], v0 offset1:1
	ds_load_2addr_b32 v[4:5], v0 offset0:2 offset1:3
	ds_load_2addr_b32 v[6:7], v0 offset0:4 offset1:5
	ds_load_b32 v8, v0 offset:24
	s_add_co_i32 s4, s4, -1
	s_wait_dscnt 0x0
	s_cmp_lg_u32 s4, 0
	s_barrier_signal -1
	s_barrier_wait -1
	s_cbranch_scc1 .LBB124_1
; %bb.2:
	s_add_nc_u64 s[0:1], s[0:1], s[2:3]
	s_clause 0x1
	global_store_b128 v0, v[2:5], s[0:1]
	global_store_b96 v0, v[6:8], s[0:1] offset:16
	s_endpgm
	.section	.rodata,"a",@progbits
	.p2align	6, 0x0
	.amdhsa_kernel _Z6kernelI18scatter_to_blockediLj256ELj7ELj100EEvPKT0_PKjPS1_
		.amdhsa_group_segment_fixed_size 7168
		.amdhsa_private_segment_fixed_size 0
		.amdhsa_kernarg_size 24
		.amdhsa_user_sgpr_count 2
		.amdhsa_user_sgpr_dispatch_ptr 0
		.amdhsa_user_sgpr_queue_ptr 0
		.amdhsa_user_sgpr_kernarg_segment_ptr 1
		.amdhsa_user_sgpr_dispatch_id 0
		.amdhsa_user_sgpr_kernarg_preload_length 0
		.amdhsa_user_sgpr_kernarg_preload_offset 0
		.amdhsa_user_sgpr_private_segment_size 0
		.amdhsa_wavefront_size32 1
		.amdhsa_uses_dynamic_stack 0
		.amdhsa_enable_private_segment 0
		.amdhsa_system_sgpr_workgroup_id_x 1
		.amdhsa_system_sgpr_workgroup_id_y 0
		.amdhsa_system_sgpr_workgroup_id_z 0
		.amdhsa_system_sgpr_workgroup_info 0
		.amdhsa_system_vgpr_workitem_id 0
		.amdhsa_next_free_vgpr 15
		.amdhsa_next_free_sgpr 9
		.amdhsa_named_barrier_count 0
		.amdhsa_reserve_vcc 0
		.amdhsa_float_round_mode_32 0
		.amdhsa_float_round_mode_16_64 0
		.amdhsa_float_denorm_mode_32 3
		.amdhsa_float_denorm_mode_16_64 3
		.amdhsa_fp16_overflow 0
		.amdhsa_memory_ordered 1
		.amdhsa_forward_progress 1
		.amdhsa_inst_pref_size 5
		.amdhsa_round_robin_scheduling 0
		.amdhsa_exception_fp_ieee_invalid_op 0
		.amdhsa_exception_fp_denorm_src 0
		.amdhsa_exception_fp_ieee_div_zero 0
		.amdhsa_exception_fp_ieee_overflow 0
		.amdhsa_exception_fp_ieee_underflow 0
		.amdhsa_exception_fp_ieee_inexact 0
		.amdhsa_exception_int_div_zero 0
	.end_amdhsa_kernel
	.section	.text._Z6kernelI18scatter_to_blockediLj256ELj7ELj100EEvPKT0_PKjPS1_,"axG",@progbits,_Z6kernelI18scatter_to_blockediLj256ELj7ELj100EEvPKT0_PKjPS1_,comdat
.Lfunc_end124:
	.size	_Z6kernelI18scatter_to_blockediLj256ELj7ELj100EEvPKT0_PKjPS1_, .Lfunc_end124-_Z6kernelI18scatter_to_blockediLj256ELj7ELj100EEvPKT0_PKjPS1_
                                        ; -- End function
	.set _Z6kernelI18scatter_to_blockediLj256ELj7ELj100EEvPKT0_PKjPS1_.num_vgpr, 15
	.set _Z6kernelI18scatter_to_blockediLj256ELj7ELj100EEvPKT0_PKjPS1_.num_agpr, 0
	.set _Z6kernelI18scatter_to_blockediLj256ELj7ELj100EEvPKT0_PKjPS1_.numbered_sgpr, 9
	.set _Z6kernelI18scatter_to_blockediLj256ELj7ELj100EEvPKT0_PKjPS1_.num_named_barrier, 0
	.set _Z6kernelI18scatter_to_blockediLj256ELj7ELj100EEvPKT0_PKjPS1_.private_seg_size, 0
	.set _Z6kernelI18scatter_to_blockediLj256ELj7ELj100EEvPKT0_PKjPS1_.uses_vcc, 0
	.set _Z6kernelI18scatter_to_blockediLj256ELj7ELj100EEvPKT0_PKjPS1_.uses_flat_scratch, 0
	.set _Z6kernelI18scatter_to_blockediLj256ELj7ELj100EEvPKT0_PKjPS1_.has_dyn_sized_stack, 0
	.set _Z6kernelI18scatter_to_blockediLj256ELj7ELj100EEvPKT0_PKjPS1_.has_recursion, 0
	.set _Z6kernelI18scatter_to_blockediLj256ELj7ELj100EEvPKT0_PKjPS1_.has_indirect_call, 0
	.section	.AMDGPU.csdata,"",@progbits
; Kernel info:
; codeLenInByte = 524
; TotalNumSgprs: 9
; NumVgprs: 15
; ScratchSize: 0
; MemoryBound: 0
; FloatMode: 240
; IeeeMode: 1
; LDSByteSize: 7168 bytes/workgroup (compile time only)
; SGPRBlocks: 0
; VGPRBlocks: 0
; NumSGPRsForWavesPerEU: 9
; NumVGPRsForWavesPerEU: 15
; NamedBarCnt: 0
; Occupancy: 16
; WaveLimiterHint : 1
; COMPUTE_PGM_RSRC2:SCRATCH_EN: 0
; COMPUTE_PGM_RSRC2:USER_SGPR: 2
; COMPUTE_PGM_RSRC2:TRAP_HANDLER: 0
; COMPUTE_PGM_RSRC2:TGID_X_EN: 1
; COMPUTE_PGM_RSRC2:TGID_Y_EN: 0
; COMPUTE_PGM_RSRC2:TGID_Z_EN: 0
; COMPUTE_PGM_RSRC2:TIDIG_COMP_CNT: 0
	.section	.text._Z6kernelI18scatter_to_blockediLj256ELj8ELj100EEvPKT0_PKjPS1_,"axG",@progbits,_Z6kernelI18scatter_to_blockediLj256ELj8ELj100EEvPKT0_PKjPS1_,comdat
	.protected	_Z6kernelI18scatter_to_blockediLj256ELj8ELj100EEvPKT0_PKjPS1_ ; -- Begin function _Z6kernelI18scatter_to_blockediLj256ELj8ELj100EEvPKT0_PKjPS1_
	.globl	_Z6kernelI18scatter_to_blockediLj256ELj8ELj100EEvPKT0_PKjPS1_
	.p2align	8
	.type	_Z6kernelI18scatter_to_blockediLj256ELj8ELj100EEvPKT0_PKjPS1_,@function
_Z6kernelI18scatter_to_blockediLj256ELj8ELj100EEvPKT0_PKjPS1_: ; @_Z6kernelI18scatter_to_blockediLj256ELj8ELj100EEvPKT0_PKjPS1_
; %bb.0:
	s_load_b128 s[4:7], s[0:1], 0x0
	s_bfe_u32 s2, ttmp6, 0x4000c
	s_and_b32 s3, ttmp6, 15
	s_add_co_i32 s2, s2, 1
	s_getreg_b32 s8, hwreg(HW_REG_IB_STS2, 6, 4)
	s_mul_i32 s2, ttmp9, s2
	s_wait_xcnt 0x0
	s_load_b64 s[0:1], s[0:1], 0x10
	s_add_co_i32 s3, s3, s2
	s_cmp_eq_u32 s8, 0
	v_and_b32_e32 v18, 0xfc, v0
	s_cselect_b32 s2, ttmp9, s3
	s_mov_b32 s3, 0
	s_lshl_b32 s2, s2, 11
	s_delay_alu instid0(SALU_CYCLE_1)
	s_lshl_b64 s[2:3], s[2:3], 2
	s_wait_kmcnt 0x0
	s_add_nc_u64 s[6:7], s[6:7], s[2:3]
	s_add_nc_u64 s[4:5], s[4:5], s[2:3]
	s_clause 0xf
	global_load_b32 v10, v0, s[6:7] scale_offset
	global_load_b32 v11, v0, s[6:7] offset:1024 scale_offset
	global_load_b32 v12, v0, s[6:7] offset:2048 scale_offset
	;; [unrolled: 1-line block ×7, first 2 shown]
	global_load_b32 v6, v0, s[4:5] scale_offset
	global_load_b32 v7, v0, s[4:5] offset:1024 scale_offset
	global_load_b32 v8, v0, s[4:5] offset:2048 scale_offset
	;; [unrolled: 1-line block ×7, first 2 shown]
	v_lshlrev_b32_e32 v1, 3, v0
	s_wait_xcnt 0x0
	v_lshl_add_u32 v0, v0, 5, v18
	s_movk_i32 s4, 0x64
	s_wait_loadcnt 0xe
	v_dual_lshrrev_b32 v19, 3, v10 :: v_dual_lshrrev_b32 v20, 3, v11
	s_wait_loadcnt 0xc
	v_dual_lshrrev_b32 v21, 3, v12 :: v_dual_lshrrev_b32 v22, 3, v13
	;; [unrolled: 2-line block ×4, first 2 shown]
	v_and_b32_e32 v19, 0x1ffffffc, v19
	v_and_b32_e32 v20, 0x1ffffffc, v20
	v_and_b32_e32 v21, 0x1ffffffc, v21
	v_and_b32_e32 v22, 0x1ffffffc, v22
	v_and_b32_e32 v23, 0x1ffffffc, v23
	v_and_b32_e32 v24, 0x1ffffffc, v24
	v_and_b32_e32 v25, 0x1ffffffc, v25
	v_and_b32_e32 v26, 0x1ffffffc, v26
	v_lshl_add_u32 v10, v10, 2, v19
	v_lshl_add_u32 v11, v11, 2, v20
	v_lshl_add_u32 v12, v12, 2, v21
	v_lshl_add_u32 v13, v13, 2, v22
	v_lshl_add_u32 v14, v14, 2, v23
	v_lshl_add_u32 v15, v15, 2, v24
	v_lshl_add_u32 v16, v16, 2, v25
	v_lshl_add_u32 v17, v17, 2, v26
.LBB125_1:                              ; =>This Inner Loop Header: Depth=1
	s_wait_loadcnt 0x7
	ds_store_b32 v10, v6
	s_wait_loadcnt 0x6
	ds_store_b32 v11, v7
	;; [unrolled: 2-line block ×8, first 2 shown]
	s_wait_dscnt 0x0
	s_barrier_signal -1
	s_barrier_wait -1
	ds_load_2addr_b32 v[6:7], v0 offset1:1
	ds_load_2addr_b32 v[8:9], v0 offset0:2 offset1:3
	ds_load_2addr_b32 v[2:3], v0 offset0:4 offset1:5
	;; [unrolled: 1-line block ×3, first 2 shown]
	s_add_co_i32 s4, s4, -1
	s_wait_dscnt 0x0
	s_cmp_lg_u32 s4, 0
	s_barrier_signal -1
	s_barrier_wait -1
	s_cbranch_scc1 .LBB125_1
; %bb.2:
	v_lshlrev_b32_e32 v0, 2, v1
	s_add_nc_u64 s[0:1], s[0:1], s[2:3]
	s_clause 0x1
	global_store_b128 v0, v[6:9], s[0:1]
	global_store_b128 v0, v[2:5], s[0:1] offset:16
	s_endpgm
	.section	.rodata,"a",@progbits
	.p2align	6, 0x0
	.amdhsa_kernel _Z6kernelI18scatter_to_blockediLj256ELj8ELj100EEvPKT0_PKjPS1_
		.amdhsa_group_segment_fixed_size 8448
		.amdhsa_private_segment_fixed_size 0
		.amdhsa_kernarg_size 24
		.amdhsa_user_sgpr_count 2
		.amdhsa_user_sgpr_dispatch_ptr 0
		.amdhsa_user_sgpr_queue_ptr 0
		.amdhsa_user_sgpr_kernarg_segment_ptr 1
		.amdhsa_user_sgpr_dispatch_id 0
		.amdhsa_user_sgpr_kernarg_preload_length 0
		.amdhsa_user_sgpr_kernarg_preload_offset 0
		.amdhsa_user_sgpr_private_segment_size 0
		.amdhsa_wavefront_size32 1
		.amdhsa_uses_dynamic_stack 0
		.amdhsa_enable_private_segment 0
		.amdhsa_system_sgpr_workgroup_id_x 1
		.amdhsa_system_sgpr_workgroup_id_y 0
		.amdhsa_system_sgpr_workgroup_id_z 0
		.amdhsa_system_sgpr_workgroup_info 0
		.amdhsa_system_vgpr_workitem_id 0
		.amdhsa_next_free_vgpr 27
		.amdhsa_next_free_sgpr 9
		.amdhsa_named_barrier_count 0
		.amdhsa_reserve_vcc 0
		.amdhsa_float_round_mode_32 0
		.amdhsa_float_round_mode_16_64 0
		.amdhsa_float_denorm_mode_32 3
		.amdhsa_float_denorm_mode_16_64 3
		.amdhsa_fp16_overflow 0
		.amdhsa_memory_ordered 1
		.amdhsa_forward_progress 1
		.amdhsa_inst_pref_size 6
		.amdhsa_round_robin_scheduling 0
		.amdhsa_exception_fp_ieee_invalid_op 0
		.amdhsa_exception_fp_denorm_src 0
		.amdhsa_exception_fp_ieee_div_zero 0
		.amdhsa_exception_fp_ieee_overflow 0
		.amdhsa_exception_fp_ieee_underflow 0
		.amdhsa_exception_fp_ieee_inexact 0
		.amdhsa_exception_int_div_zero 0
	.end_amdhsa_kernel
	.section	.text._Z6kernelI18scatter_to_blockediLj256ELj8ELj100EEvPKT0_PKjPS1_,"axG",@progbits,_Z6kernelI18scatter_to_blockediLj256ELj8ELj100EEvPKT0_PKjPS1_,comdat
.Lfunc_end125:
	.size	_Z6kernelI18scatter_to_blockediLj256ELj8ELj100EEvPKT0_PKjPS1_, .Lfunc_end125-_Z6kernelI18scatter_to_blockediLj256ELj8ELj100EEvPKT0_PKjPS1_
                                        ; -- End function
	.set _Z6kernelI18scatter_to_blockediLj256ELj8ELj100EEvPKT0_PKjPS1_.num_vgpr, 27
	.set _Z6kernelI18scatter_to_blockediLj256ELj8ELj100EEvPKT0_PKjPS1_.num_agpr, 0
	.set _Z6kernelI18scatter_to_blockediLj256ELj8ELj100EEvPKT0_PKjPS1_.numbered_sgpr, 9
	.set _Z6kernelI18scatter_to_blockediLj256ELj8ELj100EEvPKT0_PKjPS1_.num_named_barrier, 0
	.set _Z6kernelI18scatter_to_blockediLj256ELj8ELj100EEvPKT0_PKjPS1_.private_seg_size, 0
	.set _Z6kernelI18scatter_to_blockediLj256ELj8ELj100EEvPKT0_PKjPS1_.uses_vcc, 0
	.set _Z6kernelI18scatter_to_blockediLj256ELj8ELj100EEvPKT0_PKjPS1_.uses_flat_scratch, 0
	.set _Z6kernelI18scatter_to_blockediLj256ELj8ELj100EEvPKT0_PKjPS1_.has_dyn_sized_stack, 0
	.set _Z6kernelI18scatter_to_blockediLj256ELj8ELj100EEvPKT0_PKjPS1_.has_recursion, 0
	.set _Z6kernelI18scatter_to_blockediLj256ELj8ELj100EEvPKT0_PKjPS1_.has_indirect_call, 0
	.section	.AMDGPU.csdata,"",@progbits
; Kernel info:
; codeLenInByte = 704
; TotalNumSgprs: 9
; NumVgprs: 27
; ScratchSize: 0
; MemoryBound: 0
; FloatMode: 240
; IeeeMode: 1
; LDSByteSize: 8448 bytes/workgroup (compile time only)
; SGPRBlocks: 0
; VGPRBlocks: 1
; NumSGPRsForWavesPerEU: 9
; NumVGPRsForWavesPerEU: 27
; NamedBarCnt: 0
; Occupancy: 16
; WaveLimiterHint : 1
; COMPUTE_PGM_RSRC2:SCRATCH_EN: 0
; COMPUTE_PGM_RSRC2:USER_SGPR: 2
; COMPUTE_PGM_RSRC2:TRAP_HANDLER: 0
; COMPUTE_PGM_RSRC2:TGID_X_EN: 1
; COMPUTE_PGM_RSRC2:TGID_Y_EN: 0
; COMPUTE_PGM_RSRC2:TGID_Z_EN: 0
; COMPUTE_PGM_RSRC2:TIDIG_COMP_CNT: 0
	.section	.text._Z6kernelI18scatter_to_blockedaLj256ELj1ELj100EEvPKT0_PKjPS1_,"axG",@progbits,_Z6kernelI18scatter_to_blockedaLj256ELj1ELj100EEvPKT0_PKjPS1_,comdat
	.protected	_Z6kernelI18scatter_to_blockedaLj256ELj1ELj100EEvPKT0_PKjPS1_ ; -- Begin function _Z6kernelI18scatter_to_blockedaLj256ELj1ELj100EEvPKT0_PKjPS1_
	.globl	_Z6kernelI18scatter_to_blockedaLj256ELj1ELj100EEvPKT0_PKjPS1_
	.p2align	8
	.type	_Z6kernelI18scatter_to_blockedaLj256ELj1ELj100EEvPKT0_PKjPS1_,@function
_Z6kernelI18scatter_to_blockedaLj256ELj1ELj100EEvPKT0_PKjPS1_: ; @_Z6kernelI18scatter_to_blockedaLj256ELj1ELj100EEvPKT0_PKjPS1_
; %bb.0:
	s_load_b128 s[4:7], s[0:1], 0x0
	s_bfe_u32 s2, ttmp6, 0x4000c
	s_and_b32 s3, ttmp6, 15
	s_add_co_i32 s2, s2, 1
	s_getreg_b32 s8, hwreg(HW_REG_IB_STS2, 6, 4)
	s_mul_i32 s2, ttmp9, s2
	s_wait_xcnt 0x0
	s_load_b64 s[0:1], s[0:1], 0x10
	s_add_co_i32 s3, s3, s2
	s_cmp_eq_u32 s8, 0
	v_mov_b32_e32 v1, 0
	s_cselect_b32 s2, ttmp9, s3
	s_mov_b32 s3, 0
	s_lshl_b32 s2, s2, 8
	s_delay_alu instid0(SALU_CYCLE_1)
	s_lshl_b64 s[8:9], s[2:3], 2
	s_wait_kmcnt 0x0
	s_add_nc_u64 s[4:5], s[4:5], s[2:3]
	s_add_nc_u64 s[6:7], s[6:7], s[8:9]
	s_clause 0x1
	global_load_u8 v2, v0, s[4:5]
	global_load_b32 v3, v0, s[6:7] scale_offset
	s_wait_xcnt 0x1
	s_movk_i32 s4, 0x64
.LBB126_1:                              ; =>This Inner Loop Header: Depth=1
	s_wait_loadcnt 0x0
	ds_store_b8 v3, v2
	s_wait_dscnt 0x0
	s_barrier_signal -1
	s_barrier_wait -1
	ds_load_u8 v2, v0
	s_add_co_i32 s4, s4, -1
	s_wait_dscnt 0x0
	s_cmp_lg_u32 s4, 0
	s_barrier_signal -1
	s_barrier_wait -1
	s_cbranch_scc1 .LBB126_1
; %bb.2:
	s_add_nc_u64 s[0:1], s[0:1], s[2:3]
	s_delay_alu instid0(SALU_CYCLE_1)
	v_add_nc_u64_e32 v[0:1], s[0:1], v[0:1]
	global_store_b8 v[0:1], v2, off
	s_endpgm
	.section	.rodata,"a",@progbits
	.p2align	6, 0x0
	.amdhsa_kernel _Z6kernelI18scatter_to_blockedaLj256ELj1ELj100EEvPKT0_PKjPS1_
		.amdhsa_group_segment_fixed_size 256
		.amdhsa_private_segment_fixed_size 0
		.amdhsa_kernarg_size 24
		.amdhsa_user_sgpr_count 2
		.amdhsa_user_sgpr_dispatch_ptr 0
		.amdhsa_user_sgpr_queue_ptr 0
		.amdhsa_user_sgpr_kernarg_segment_ptr 1
		.amdhsa_user_sgpr_dispatch_id 0
		.amdhsa_user_sgpr_kernarg_preload_length 0
		.amdhsa_user_sgpr_kernarg_preload_offset 0
		.amdhsa_user_sgpr_private_segment_size 0
		.amdhsa_wavefront_size32 1
		.amdhsa_uses_dynamic_stack 0
		.amdhsa_enable_private_segment 0
		.amdhsa_system_sgpr_workgroup_id_x 1
		.amdhsa_system_sgpr_workgroup_id_y 0
		.amdhsa_system_sgpr_workgroup_id_z 0
		.amdhsa_system_sgpr_workgroup_info 0
		.amdhsa_system_vgpr_workitem_id 0
		.amdhsa_next_free_vgpr 4
		.amdhsa_next_free_sgpr 10
		.amdhsa_named_barrier_count 0
		.amdhsa_reserve_vcc 0
		.amdhsa_float_round_mode_32 0
		.amdhsa_float_round_mode_16_64 0
		.amdhsa_float_denorm_mode_32 3
		.amdhsa_float_denorm_mode_16_64 3
		.amdhsa_fp16_overflow 0
		.amdhsa_memory_ordered 1
		.amdhsa_forward_progress 1
		.amdhsa_inst_pref_size 2
		.amdhsa_round_robin_scheduling 0
		.amdhsa_exception_fp_ieee_invalid_op 0
		.amdhsa_exception_fp_denorm_src 0
		.amdhsa_exception_fp_ieee_div_zero 0
		.amdhsa_exception_fp_ieee_overflow 0
		.amdhsa_exception_fp_ieee_underflow 0
		.amdhsa_exception_fp_ieee_inexact 0
		.amdhsa_exception_int_div_zero 0
	.end_amdhsa_kernel
	.section	.text._Z6kernelI18scatter_to_blockedaLj256ELj1ELj100EEvPKT0_PKjPS1_,"axG",@progbits,_Z6kernelI18scatter_to_blockedaLj256ELj1ELj100EEvPKT0_PKjPS1_,comdat
.Lfunc_end126:
	.size	_Z6kernelI18scatter_to_blockedaLj256ELj1ELj100EEvPKT0_PKjPS1_, .Lfunc_end126-_Z6kernelI18scatter_to_blockedaLj256ELj1ELj100EEvPKT0_PKjPS1_
                                        ; -- End function
	.set _Z6kernelI18scatter_to_blockedaLj256ELj1ELj100EEvPKT0_PKjPS1_.num_vgpr, 4
	.set _Z6kernelI18scatter_to_blockedaLj256ELj1ELj100EEvPKT0_PKjPS1_.num_agpr, 0
	.set _Z6kernelI18scatter_to_blockedaLj256ELj1ELj100EEvPKT0_PKjPS1_.numbered_sgpr, 10
	.set _Z6kernelI18scatter_to_blockedaLj256ELj1ELj100EEvPKT0_PKjPS1_.num_named_barrier, 0
	.set _Z6kernelI18scatter_to_blockedaLj256ELj1ELj100EEvPKT0_PKjPS1_.private_seg_size, 0
	.set _Z6kernelI18scatter_to_blockedaLj256ELj1ELj100EEvPKT0_PKjPS1_.uses_vcc, 0
	.set _Z6kernelI18scatter_to_blockedaLj256ELj1ELj100EEvPKT0_PKjPS1_.uses_flat_scratch, 0
	.set _Z6kernelI18scatter_to_blockedaLj256ELj1ELj100EEvPKT0_PKjPS1_.has_dyn_sized_stack, 0
	.set _Z6kernelI18scatter_to_blockedaLj256ELj1ELj100EEvPKT0_PKjPS1_.has_recursion, 0
	.set _Z6kernelI18scatter_to_blockedaLj256ELj1ELj100EEvPKT0_PKjPS1_.has_indirect_call, 0
	.section	.AMDGPU.csdata,"",@progbits
; Kernel info:
; codeLenInByte = 208
; TotalNumSgprs: 10
; NumVgprs: 4
; ScratchSize: 0
; MemoryBound: 0
; FloatMode: 240
; IeeeMode: 1
; LDSByteSize: 256 bytes/workgroup (compile time only)
; SGPRBlocks: 0
; VGPRBlocks: 0
; NumSGPRsForWavesPerEU: 10
; NumVGPRsForWavesPerEU: 4
; NamedBarCnt: 0
; Occupancy: 16
; WaveLimiterHint : 0
; COMPUTE_PGM_RSRC2:SCRATCH_EN: 0
; COMPUTE_PGM_RSRC2:USER_SGPR: 2
; COMPUTE_PGM_RSRC2:TRAP_HANDLER: 0
; COMPUTE_PGM_RSRC2:TGID_X_EN: 1
; COMPUTE_PGM_RSRC2:TGID_Y_EN: 0
; COMPUTE_PGM_RSRC2:TGID_Z_EN: 0
; COMPUTE_PGM_RSRC2:TIDIG_COMP_CNT: 0
	.section	.text._Z6kernelI18scatter_to_blockedaLj256ELj2ELj100EEvPKT0_PKjPS1_,"axG",@progbits,_Z6kernelI18scatter_to_blockedaLj256ELj2ELj100EEvPKT0_PKjPS1_,comdat
	.protected	_Z6kernelI18scatter_to_blockedaLj256ELj2ELj100EEvPKT0_PKjPS1_ ; -- Begin function _Z6kernelI18scatter_to_blockedaLj256ELj2ELj100EEvPKT0_PKjPS1_
	.globl	_Z6kernelI18scatter_to_blockedaLj256ELj2ELj100EEvPKT0_PKjPS1_
	.p2align	8
	.type	_Z6kernelI18scatter_to_blockedaLj256ELj2ELj100EEvPKT0_PKjPS1_,@function
_Z6kernelI18scatter_to_blockedaLj256ELj2ELj100EEvPKT0_PKjPS1_: ; @_Z6kernelI18scatter_to_blockedaLj256ELj2ELj100EEvPKT0_PKjPS1_
; %bb.0:
	s_load_b128 s[4:7], s[0:1], 0x0
	s_bfe_u32 s2, ttmp6, 0x4000c
	s_and_b32 s3, ttmp6, 15
	s_add_co_i32 s2, s2, 1
	s_getreg_b32 s8, hwreg(HW_REG_IB_STS2, 6, 4)
	s_mul_i32 s2, ttmp9, s2
	s_wait_xcnt 0x0
	s_load_b64 s[0:1], s[0:1], 0x10
	s_add_co_i32 s3, s3, s2
	s_cmp_eq_u32 s8, 0
	v_lshrrev_b32_e32 v7, 4, v0
	s_cselect_b32 s2, ttmp9, s3
	s_mov_b32 s3, 0
	s_lshl_b32 s2, s2, 9
	s_delay_alu instid0(SALU_CYCLE_1)
	s_lshl_b64 s[8:9], s[2:3], 2
	s_wait_kmcnt 0x0
	s_add_nc_u64 s[6:7], s[6:7], s[8:9]
	s_add_nc_u64 s[4:5], s[4:5], s[2:3]
	s_clause 0x3
	global_load_b32 v2, v0, s[6:7] scale_offset
	global_load_b32 v3, v0, s[6:7] offset:1024 scale_offset
	global_load_u8 v1, v0, s[4:5] offset:256
	global_load_u8 v4, v0, s[4:5]
	s_wait_xcnt 0x0
	v_lshlrev_b32_e32 v0, 1, v0
	s_movk_i32 s4, 0x64
	s_wait_loadcnt 0x2
	v_dual_lshrrev_b32 v5, 5, v2 :: v_dual_lshrrev_b32 v6, 5, v3
	s_wait_loadcnt 0x0
	v_perm_b32 v1, v4, v1, 0xc0c0004
	s_delay_alu instid0(VALU_DEP_2) | instskip(NEXT) | instid1(VALU_DEP_3)
	v_and_b32_e32 v5, 0x7fffffc, v5
	v_and_b32_e32 v6, 0x7fffffc, v6
	s_delay_alu instid0(VALU_DEP_2) | instskip(NEXT) | instid1(VALU_DEP_1)
	v_dual_add_nc_u32 v2, v5, v2 :: v_dual_bitop2_b32 v7, 12, v7 bitop3:0x40
	v_dual_add_nc_u32 v3, v6, v3 :: v_dual_add_nc_u32 v4, v7, v0
.LBB127_1:                              ; =>This Inner Loop Header: Depth=1
	v_lshrrev_b16 v5, 8, v1
	s_add_co_i32 s4, s4, -1
	ds_store_b8 v2, v1
	ds_store_b8 v3, v5
	s_wait_dscnt 0x0
	s_barrier_signal -1
	s_barrier_wait -1
	ds_load_u16 v1, v4
	s_cmp_lg_u32 s4, 0
	s_wait_dscnt 0x0
	s_barrier_signal -1
	s_barrier_wait -1
	s_cbranch_scc1 .LBB127_1
; %bb.2:
	s_add_nc_u64 s[0:1], s[0:1], s[2:3]
	global_store_b16 v0, v1, s[0:1]
	s_endpgm
	.section	.rodata,"a",@progbits
	.p2align	6, 0x0
	.amdhsa_kernel _Z6kernelI18scatter_to_blockedaLj256ELj2ELj100EEvPKT0_PKjPS1_
		.amdhsa_group_segment_fixed_size 528
		.amdhsa_private_segment_fixed_size 0
		.amdhsa_kernarg_size 24
		.amdhsa_user_sgpr_count 2
		.amdhsa_user_sgpr_dispatch_ptr 0
		.amdhsa_user_sgpr_queue_ptr 0
		.amdhsa_user_sgpr_kernarg_segment_ptr 1
		.amdhsa_user_sgpr_dispatch_id 0
		.amdhsa_user_sgpr_kernarg_preload_length 0
		.amdhsa_user_sgpr_kernarg_preload_offset 0
		.amdhsa_user_sgpr_private_segment_size 0
		.amdhsa_wavefront_size32 1
		.amdhsa_uses_dynamic_stack 0
		.amdhsa_enable_private_segment 0
		.amdhsa_system_sgpr_workgroup_id_x 1
		.amdhsa_system_sgpr_workgroup_id_y 0
		.amdhsa_system_sgpr_workgroup_id_z 0
		.amdhsa_system_sgpr_workgroup_info 0
		.amdhsa_system_vgpr_workitem_id 0
		.amdhsa_next_free_vgpr 8
		.amdhsa_next_free_sgpr 10
		.amdhsa_named_barrier_count 0
		.amdhsa_reserve_vcc 0
		.amdhsa_float_round_mode_32 0
		.amdhsa_float_round_mode_16_64 0
		.amdhsa_float_denorm_mode_32 3
		.amdhsa_float_denorm_mode_16_64 3
		.amdhsa_fp16_overflow 0
		.amdhsa_memory_ordered 1
		.amdhsa_forward_progress 1
		.amdhsa_inst_pref_size 3
		.amdhsa_round_robin_scheduling 0
		.amdhsa_exception_fp_ieee_invalid_op 0
		.amdhsa_exception_fp_denorm_src 0
		.amdhsa_exception_fp_ieee_div_zero 0
		.amdhsa_exception_fp_ieee_overflow 0
		.amdhsa_exception_fp_ieee_underflow 0
		.amdhsa_exception_fp_ieee_inexact 0
		.amdhsa_exception_int_div_zero 0
	.end_amdhsa_kernel
	.section	.text._Z6kernelI18scatter_to_blockedaLj256ELj2ELj100EEvPKT0_PKjPS1_,"axG",@progbits,_Z6kernelI18scatter_to_blockedaLj256ELj2ELj100EEvPKT0_PKjPS1_,comdat
.Lfunc_end127:
	.size	_Z6kernelI18scatter_to_blockedaLj256ELj2ELj100EEvPKT0_PKjPS1_, .Lfunc_end127-_Z6kernelI18scatter_to_blockedaLj256ELj2ELj100EEvPKT0_PKjPS1_
                                        ; -- End function
	.set _Z6kernelI18scatter_to_blockedaLj256ELj2ELj100EEvPKT0_PKjPS1_.num_vgpr, 8
	.set _Z6kernelI18scatter_to_blockedaLj256ELj2ELj100EEvPKT0_PKjPS1_.num_agpr, 0
	.set _Z6kernelI18scatter_to_blockedaLj256ELj2ELj100EEvPKT0_PKjPS1_.numbered_sgpr, 10
	.set _Z6kernelI18scatter_to_blockedaLj256ELj2ELj100EEvPKT0_PKjPS1_.num_named_barrier, 0
	.set _Z6kernelI18scatter_to_blockedaLj256ELj2ELj100EEvPKT0_PKjPS1_.private_seg_size, 0
	.set _Z6kernelI18scatter_to_blockedaLj256ELj2ELj100EEvPKT0_PKjPS1_.uses_vcc, 0
	.set _Z6kernelI18scatter_to_blockedaLj256ELj2ELj100EEvPKT0_PKjPS1_.uses_flat_scratch, 0
	.set _Z6kernelI18scatter_to_blockedaLj256ELj2ELj100EEvPKT0_PKjPS1_.has_dyn_sized_stack, 0
	.set _Z6kernelI18scatter_to_blockedaLj256ELj2ELj100EEvPKT0_PKjPS1_.has_recursion, 0
	.set _Z6kernelI18scatter_to_blockedaLj256ELj2ELj100EEvPKT0_PKjPS1_.has_indirect_call, 0
	.section	.AMDGPU.csdata,"",@progbits
; Kernel info:
; codeLenInByte = 320
; TotalNumSgprs: 10
; NumVgprs: 8
; ScratchSize: 0
; MemoryBound: 0
; FloatMode: 240
; IeeeMode: 1
; LDSByteSize: 528 bytes/workgroup (compile time only)
; SGPRBlocks: 0
; VGPRBlocks: 0
; NumSGPRsForWavesPerEU: 10
; NumVGPRsForWavesPerEU: 8
; NamedBarCnt: 0
; Occupancy: 16
; WaveLimiterHint : 1
; COMPUTE_PGM_RSRC2:SCRATCH_EN: 0
; COMPUTE_PGM_RSRC2:USER_SGPR: 2
; COMPUTE_PGM_RSRC2:TRAP_HANDLER: 0
; COMPUTE_PGM_RSRC2:TGID_X_EN: 1
; COMPUTE_PGM_RSRC2:TGID_Y_EN: 0
; COMPUTE_PGM_RSRC2:TGID_Z_EN: 0
; COMPUTE_PGM_RSRC2:TIDIG_COMP_CNT: 0
	.section	.text._Z6kernelI18scatter_to_blockedaLj256ELj3ELj100EEvPKT0_PKjPS1_,"axG",@progbits,_Z6kernelI18scatter_to_blockedaLj256ELj3ELj100EEvPKT0_PKjPS1_,comdat
	.protected	_Z6kernelI18scatter_to_blockedaLj256ELj3ELj100EEvPKT0_PKjPS1_ ; -- Begin function _Z6kernelI18scatter_to_blockedaLj256ELj3ELj100EEvPKT0_PKjPS1_
	.globl	_Z6kernelI18scatter_to_blockedaLj256ELj3ELj100EEvPKT0_PKjPS1_
	.p2align	8
	.type	_Z6kernelI18scatter_to_blockedaLj256ELj3ELj100EEvPKT0_PKjPS1_,@function
_Z6kernelI18scatter_to_blockedaLj256ELj3ELj100EEvPKT0_PKjPS1_: ; @_Z6kernelI18scatter_to_blockedaLj256ELj3ELj100EEvPKT0_PKjPS1_
; %bb.0:
	s_load_b128 s[4:7], s[0:1], 0x0
	s_bfe_u32 s2, ttmp6, 0x4000c
	s_and_b32 s3, ttmp6, 15
	s_add_co_i32 s2, s2, 1
	s_getreg_b32 s8, hwreg(HW_REG_IB_STS2, 6, 4)
	s_mul_i32 s2, ttmp9, s2
	s_wait_xcnt 0x0
	s_load_b64 s[0:1], s[0:1], 0x10
	s_add_co_i32 s3, s3, s2
	s_cmp_eq_u32 s8, 0
	s_cselect_b32 s2, ttmp9, s3
	s_mov_b32 s3, 0
	s_mulk_i32 s2, 0x300
	s_delay_alu instid0(SALU_CYCLE_1)
	s_lshl_b64 s[8:9], s[2:3], 2
	s_wait_kmcnt 0x0
	s_add_nc_u64 s[4:5], s[4:5], s[2:3]
	s_add_nc_u64 s[6:7], s[6:7], s[8:9]
	s_clause 0x5
	global_load_u8 v4, v0, s[4:5] offset:256
	global_load_u8 v5, v0, s[4:5] offset:512
	global_load_b32 v1, v0, s[6:7] scale_offset
	global_load_b32 v2, v0, s[6:7] offset:1024 scale_offset
	global_load_b32 v3, v0, s[6:7] offset:2048 scale_offset
	global_load_u8 v6, v0, s[4:5]
	s_wait_xcnt 0x0
	v_mul_u32_u24_e32 v0, 3, v0
	s_movk_i32 s4, 0x64
	s_wait_loadcnt 0x0
	v_perm_b32 v4, v6, v4, 0xc0c0004
	s_delay_alu instid0(VALU_DEP_1)
	v_lshl_or_b32 v5, v5, 16, v4
.LBB128_1:                              ; =>This Inner Loop Header: Depth=1
	s_delay_alu instid0(VALU_DEP_1)
	v_lshrrev_b32_e32 v4, 8, v5
	s_add_co_i32 s4, s4, -1
	ds_store_b8 v1, v5
	ds_store_b8 v2, v4
	ds_store_b8_d16_hi v3, v5
	s_wait_dscnt 0x0
	s_barrier_signal -1
	s_barrier_wait -1
	ds_load_u16 v5, v0 offset:1
	ds_load_u8 v4, v0
	s_cmp_lg_u32 s4, 0
	s_wait_dscnt 0x0
	s_barrier_signal -1
	s_barrier_wait -1
	v_lshlrev_b16 v7, 8, v5
	v_lshrrev_b16 v6, 8, v5
	s_delay_alu instid0(VALU_DEP_2) | instskip(NEXT) | instid1(VALU_DEP_2)
	v_perm_b32 v5, v4, v7, 0xc0c0104
	v_lshlrev_b32_e32 v8, 16, v6
	s_delay_alu instid0(VALU_DEP_1)
	v_or_b32_e32 v5, v5, v8
	s_cbranch_scc1 .LBB128_1
; %bb.2:
	v_or_b32_e32 v1, v4, v7
	s_add_nc_u64 s[0:1], s[0:1], s[2:3]
	s_clause 0x1
	global_store_b8 v0, v6, s[0:1] offset:2
	global_store_b16 v0, v1, s[0:1]
	s_endpgm
	.section	.rodata,"a",@progbits
	.p2align	6, 0x0
	.amdhsa_kernel _Z6kernelI18scatter_to_blockedaLj256ELj3ELj100EEvPKT0_PKjPS1_
		.amdhsa_group_segment_fixed_size 768
		.amdhsa_private_segment_fixed_size 0
		.amdhsa_kernarg_size 24
		.amdhsa_user_sgpr_count 2
		.amdhsa_user_sgpr_dispatch_ptr 0
		.amdhsa_user_sgpr_queue_ptr 0
		.amdhsa_user_sgpr_kernarg_segment_ptr 1
		.amdhsa_user_sgpr_dispatch_id 0
		.amdhsa_user_sgpr_kernarg_preload_length 0
		.amdhsa_user_sgpr_kernarg_preload_offset 0
		.amdhsa_user_sgpr_private_segment_size 0
		.amdhsa_wavefront_size32 1
		.amdhsa_uses_dynamic_stack 0
		.amdhsa_enable_private_segment 0
		.amdhsa_system_sgpr_workgroup_id_x 1
		.amdhsa_system_sgpr_workgroup_id_y 0
		.amdhsa_system_sgpr_workgroup_id_z 0
		.amdhsa_system_sgpr_workgroup_info 0
		.amdhsa_system_vgpr_workitem_id 0
		.amdhsa_next_free_vgpr 9
		.amdhsa_next_free_sgpr 10
		.amdhsa_named_barrier_count 0
		.amdhsa_reserve_vcc 0
		.amdhsa_float_round_mode_32 0
		.amdhsa_float_round_mode_16_64 0
		.amdhsa_float_denorm_mode_32 3
		.amdhsa_float_denorm_mode_16_64 3
		.amdhsa_fp16_overflow 0
		.amdhsa_memory_ordered 1
		.amdhsa_forward_progress 1
		.amdhsa_inst_pref_size 3
		.amdhsa_round_robin_scheduling 0
		.amdhsa_exception_fp_ieee_invalid_op 0
		.amdhsa_exception_fp_denorm_src 0
		.amdhsa_exception_fp_ieee_div_zero 0
		.amdhsa_exception_fp_ieee_overflow 0
		.amdhsa_exception_fp_ieee_underflow 0
		.amdhsa_exception_fp_ieee_inexact 0
		.amdhsa_exception_int_div_zero 0
	.end_amdhsa_kernel
	.section	.text._Z6kernelI18scatter_to_blockedaLj256ELj3ELj100EEvPKT0_PKjPS1_,"axG",@progbits,_Z6kernelI18scatter_to_blockedaLj256ELj3ELj100EEvPKT0_PKjPS1_,comdat
.Lfunc_end128:
	.size	_Z6kernelI18scatter_to_blockedaLj256ELj3ELj100EEvPKT0_PKjPS1_, .Lfunc_end128-_Z6kernelI18scatter_to_blockedaLj256ELj3ELj100EEvPKT0_PKjPS1_
                                        ; -- End function
	.set _Z6kernelI18scatter_to_blockedaLj256ELj3ELj100EEvPKT0_PKjPS1_.num_vgpr, 9
	.set _Z6kernelI18scatter_to_blockedaLj256ELj3ELj100EEvPKT0_PKjPS1_.num_agpr, 0
	.set _Z6kernelI18scatter_to_blockedaLj256ELj3ELj100EEvPKT0_PKjPS1_.numbered_sgpr, 10
	.set _Z6kernelI18scatter_to_blockedaLj256ELj3ELj100EEvPKT0_PKjPS1_.num_named_barrier, 0
	.set _Z6kernelI18scatter_to_blockedaLj256ELj3ELj100EEvPKT0_PKjPS1_.private_seg_size, 0
	.set _Z6kernelI18scatter_to_blockedaLj256ELj3ELj100EEvPKT0_PKjPS1_.uses_vcc, 0
	.set _Z6kernelI18scatter_to_blockedaLj256ELj3ELj100EEvPKT0_PKjPS1_.uses_flat_scratch, 0
	.set _Z6kernelI18scatter_to_blockedaLj256ELj3ELj100EEvPKT0_PKjPS1_.has_dyn_sized_stack, 0
	.set _Z6kernelI18scatter_to_blockedaLj256ELj3ELj100EEvPKT0_PKjPS1_.has_recursion, 0
	.set _Z6kernelI18scatter_to_blockedaLj256ELj3ELj100EEvPKT0_PKjPS1_.has_indirect_call, 0
	.section	.AMDGPU.csdata,"",@progbits
; Kernel info:
; codeLenInByte = 368
; TotalNumSgprs: 10
; NumVgprs: 9
; ScratchSize: 0
; MemoryBound: 0
; FloatMode: 240
; IeeeMode: 1
; LDSByteSize: 768 bytes/workgroup (compile time only)
; SGPRBlocks: 0
; VGPRBlocks: 0
; NumSGPRsForWavesPerEU: 10
; NumVGPRsForWavesPerEU: 9
; NamedBarCnt: 0
; Occupancy: 16
; WaveLimiterHint : 1
; COMPUTE_PGM_RSRC2:SCRATCH_EN: 0
; COMPUTE_PGM_RSRC2:USER_SGPR: 2
; COMPUTE_PGM_RSRC2:TRAP_HANDLER: 0
; COMPUTE_PGM_RSRC2:TGID_X_EN: 1
; COMPUTE_PGM_RSRC2:TGID_Y_EN: 0
; COMPUTE_PGM_RSRC2:TGID_Z_EN: 0
; COMPUTE_PGM_RSRC2:TIDIG_COMP_CNT: 0
	.section	.text._Z6kernelI18scatter_to_blockedaLj256ELj4ELj100EEvPKT0_PKjPS1_,"axG",@progbits,_Z6kernelI18scatter_to_blockedaLj256ELj4ELj100EEvPKT0_PKjPS1_,comdat
	.protected	_Z6kernelI18scatter_to_blockedaLj256ELj4ELj100EEvPKT0_PKjPS1_ ; -- Begin function _Z6kernelI18scatter_to_blockedaLj256ELj4ELj100EEvPKT0_PKjPS1_
	.globl	_Z6kernelI18scatter_to_blockedaLj256ELj4ELj100EEvPKT0_PKjPS1_
	.p2align	8
	.type	_Z6kernelI18scatter_to_blockedaLj256ELj4ELj100EEvPKT0_PKjPS1_,@function
_Z6kernelI18scatter_to_blockedaLj256ELj4ELj100EEvPKT0_PKjPS1_: ; @_Z6kernelI18scatter_to_blockedaLj256ELj4ELj100EEvPKT0_PKjPS1_
; %bb.0:
	s_load_b128 s[4:7], s[0:1], 0x0
	s_bfe_u32 s2, ttmp6, 0x4000c
	s_and_b32 s3, ttmp6, 15
	s_add_co_i32 s2, s2, 1
	s_getreg_b32 s8, hwreg(HW_REG_IB_STS2, 6, 4)
	s_mul_i32 s2, ttmp9, s2
	v_lshrrev_b32_e32 v9, 3, v0
	s_add_co_i32 s3, s3, s2
	s_cmp_eq_u32 s8, 0
	s_wait_xcnt 0x0
	s_load_b64 s[0:1], s[0:1], 0x10
	s_cselect_b32 s2, ttmp9, s3
	s_mov_b32 s3, 0
	s_lshl_b32 s2, s2, 10
	s_delay_alu instid0(SALU_CYCLE_1)
	s_lshl_b64 s[8:9], s[2:3], 2
	s_wait_kmcnt 0x0
	s_add_nc_u64 s[4:5], s[4:5], s[2:3]
	s_add_nc_u64 s[6:7], s[6:7], s[8:9]
	s_clause 0x7
	global_load_u8 v1, v0, s[4:5] offset:256
	global_load_b32 v2, v0, s[6:7] scale_offset
	global_load_b32 v3, v0, s[6:7] offset:1024 scale_offset
	global_load_b32 v4, v0, s[6:7] offset:2048 scale_offset
	;; [unrolled: 1-line block ×3, first 2 shown]
	global_load_u8 v6, v0, s[4:5] offset:512
	global_load_u8 v7, v0, s[4:5]
	global_load_u8 v8, v0, s[4:5] offset:768
	s_wait_xcnt 0x0
	v_dual_lshlrev_b32 v0, 2, v0 :: v_dual_bitop2_b32 v9, 28, v9 bitop3:0x40
	s_movk_i32 s4, 0x64
	s_wait_loadcnt 0x4
	v_dual_lshrrev_b32 v10, 5, v3 :: v_dual_lshrrev_b32 v11, 5, v4
	s_wait_loadcnt 0x1
	v_perm_b32 v1, v7, v1, 0xc0c0004
	v_lshrrev_b32_e32 v7, 5, v2
	s_wait_loadcnt 0x0
	v_perm_b32 v6, v6, v8, 0xc0c0004
	v_and_b32_e32 v8, 0x7fffffc, v10
	v_and_b32_e32 v10, 0x7fffffc, v11
	;; [unrolled: 1-line block ×3, first 2 shown]
	v_lshrrev_b32_e32 v12, 5, v5
	v_lshl_or_b32 v1, v6, 16, v1
	s_delay_alu instid0(VALU_DEP_4) | instskip(NEXT) | instid1(VALU_DEP_4)
	v_dual_add_nc_u32 v3, v8, v3 :: v_dual_add_nc_u32 v4, v10, v4
	v_add_nc_u32_e32 v2, v7, v2
	s_delay_alu instid0(VALU_DEP_4) | instskip(NEXT) | instid1(VALU_DEP_1)
	v_and_b32_e32 v11, 0x7fffffc, v12
	v_dual_add_nc_u32 v6, v9, v0 :: v_dual_add_nc_u32 v5, v11, v5
.LBB129_1:                              ; =>This Inner Loop Header: Depth=1
	v_dual_lshrrev_b32 v7, 8, v1 :: v_dual_lshrrev_b32 v8, 24, v1
	s_add_co_i32 s4, s4, -1
	ds_store_b8 v2, v1
	ds_store_b8 v3, v7
	ds_store_b8_d16_hi v4, v1
	ds_store_b8 v5, v8
	s_wait_dscnt 0x0
	s_barrier_signal -1
	s_barrier_wait -1
	ds_load_b32 v1, v6
	s_cmp_lg_u32 s4, 0
	s_wait_dscnt 0x0
	s_barrier_signal -1
	s_barrier_wait -1
	s_cbranch_scc1 .LBB129_1
; %bb.2:
	s_add_nc_u64 s[0:1], s[0:1], s[2:3]
	global_store_b32 v0, v1, s[0:1]
	s_endpgm
	.section	.rodata,"a",@progbits
	.p2align	6, 0x0
	.amdhsa_kernel _Z6kernelI18scatter_to_blockedaLj256ELj4ELj100EEvPKT0_PKjPS1_
		.amdhsa_group_segment_fixed_size 1056
		.amdhsa_private_segment_fixed_size 0
		.amdhsa_kernarg_size 24
		.amdhsa_user_sgpr_count 2
		.amdhsa_user_sgpr_dispatch_ptr 0
		.amdhsa_user_sgpr_queue_ptr 0
		.amdhsa_user_sgpr_kernarg_segment_ptr 1
		.amdhsa_user_sgpr_dispatch_id 0
		.amdhsa_user_sgpr_kernarg_preload_length 0
		.amdhsa_user_sgpr_kernarg_preload_offset 0
		.amdhsa_user_sgpr_private_segment_size 0
		.amdhsa_wavefront_size32 1
		.amdhsa_uses_dynamic_stack 0
		.amdhsa_enable_private_segment 0
		.amdhsa_system_sgpr_workgroup_id_x 1
		.amdhsa_system_sgpr_workgroup_id_y 0
		.amdhsa_system_sgpr_workgroup_id_z 0
		.amdhsa_system_sgpr_workgroup_info 0
		.amdhsa_system_vgpr_workitem_id 0
		.amdhsa_next_free_vgpr 13
		.amdhsa_next_free_sgpr 10
		.amdhsa_named_barrier_count 0
		.amdhsa_reserve_vcc 0
		.amdhsa_float_round_mode_32 0
		.amdhsa_float_round_mode_16_64 0
		.amdhsa_float_denorm_mode_32 3
		.amdhsa_float_denorm_mode_16_64 3
		.amdhsa_fp16_overflow 0
		.amdhsa_memory_ordered 1
		.amdhsa_forward_progress 1
		.amdhsa_inst_pref_size 4
		.amdhsa_round_robin_scheduling 0
		.amdhsa_exception_fp_ieee_invalid_op 0
		.amdhsa_exception_fp_denorm_src 0
		.amdhsa_exception_fp_ieee_div_zero 0
		.amdhsa_exception_fp_ieee_overflow 0
		.amdhsa_exception_fp_ieee_underflow 0
		.amdhsa_exception_fp_ieee_inexact 0
		.amdhsa_exception_int_div_zero 0
	.end_amdhsa_kernel
	.section	.text._Z6kernelI18scatter_to_blockedaLj256ELj4ELj100EEvPKT0_PKjPS1_,"axG",@progbits,_Z6kernelI18scatter_to_blockedaLj256ELj4ELj100EEvPKT0_PKjPS1_,comdat
.Lfunc_end129:
	.size	_Z6kernelI18scatter_to_blockedaLj256ELj4ELj100EEvPKT0_PKjPS1_, .Lfunc_end129-_Z6kernelI18scatter_to_blockedaLj256ELj4ELj100EEvPKT0_PKjPS1_
                                        ; -- End function
	.set _Z6kernelI18scatter_to_blockedaLj256ELj4ELj100EEvPKT0_PKjPS1_.num_vgpr, 13
	.set _Z6kernelI18scatter_to_blockedaLj256ELj4ELj100EEvPKT0_PKjPS1_.num_agpr, 0
	.set _Z6kernelI18scatter_to_blockedaLj256ELj4ELj100EEvPKT0_PKjPS1_.numbered_sgpr, 10
	.set _Z6kernelI18scatter_to_blockedaLj256ELj4ELj100EEvPKT0_PKjPS1_.num_named_barrier, 0
	.set _Z6kernelI18scatter_to_blockedaLj256ELj4ELj100EEvPKT0_PKjPS1_.private_seg_size, 0
	.set _Z6kernelI18scatter_to_blockedaLj256ELj4ELj100EEvPKT0_PKjPS1_.uses_vcc, 0
	.set _Z6kernelI18scatter_to_blockedaLj256ELj4ELj100EEvPKT0_PKjPS1_.uses_flat_scratch, 0
	.set _Z6kernelI18scatter_to_blockedaLj256ELj4ELj100EEvPKT0_PKjPS1_.has_dyn_sized_stack, 0
	.set _Z6kernelI18scatter_to_blockedaLj256ELj4ELj100EEvPKT0_PKjPS1_.has_recursion, 0
	.set _Z6kernelI18scatter_to_blockedaLj256ELj4ELj100EEvPKT0_PKjPS1_.has_indirect_call, 0
	.section	.AMDGPU.csdata,"",@progbits
; Kernel info:
; codeLenInByte = 448
; TotalNumSgprs: 10
; NumVgprs: 13
; ScratchSize: 0
; MemoryBound: 0
; FloatMode: 240
; IeeeMode: 1
; LDSByteSize: 1056 bytes/workgroup (compile time only)
; SGPRBlocks: 0
; VGPRBlocks: 0
; NumSGPRsForWavesPerEU: 10
; NumVGPRsForWavesPerEU: 13
; NamedBarCnt: 0
; Occupancy: 16
; WaveLimiterHint : 1
; COMPUTE_PGM_RSRC2:SCRATCH_EN: 0
; COMPUTE_PGM_RSRC2:USER_SGPR: 2
; COMPUTE_PGM_RSRC2:TRAP_HANDLER: 0
; COMPUTE_PGM_RSRC2:TGID_X_EN: 1
; COMPUTE_PGM_RSRC2:TGID_Y_EN: 0
; COMPUTE_PGM_RSRC2:TGID_Z_EN: 0
; COMPUTE_PGM_RSRC2:TIDIG_COMP_CNT: 0
	.section	.text._Z6kernelI18scatter_to_blockedaLj256ELj7ELj100EEvPKT0_PKjPS1_,"axG",@progbits,_Z6kernelI18scatter_to_blockedaLj256ELj7ELj100EEvPKT0_PKjPS1_,comdat
	.protected	_Z6kernelI18scatter_to_blockedaLj256ELj7ELj100EEvPKT0_PKjPS1_ ; -- Begin function _Z6kernelI18scatter_to_blockedaLj256ELj7ELj100EEvPKT0_PKjPS1_
	.globl	_Z6kernelI18scatter_to_blockedaLj256ELj7ELj100EEvPKT0_PKjPS1_
	.p2align	8
	.type	_Z6kernelI18scatter_to_blockedaLj256ELj7ELj100EEvPKT0_PKjPS1_,@function
_Z6kernelI18scatter_to_blockedaLj256ELj7ELj100EEvPKT0_PKjPS1_: ; @_Z6kernelI18scatter_to_blockedaLj256ELj7ELj100EEvPKT0_PKjPS1_
; %bb.0:
	s_load_b128 s[4:7], s[0:1], 0x0
	s_bfe_u32 s2, ttmp6, 0x4000c
	s_and_b32 s3, ttmp6, 15
	s_add_co_i32 s2, s2, 1
	s_getreg_b32 s8, hwreg(HW_REG_IB_STS2, 6, 4)
	s_mul_i32 s2, ttmp9, s2
	s_wait_xcnt 0x0
	s_load_b64 s[0:1], s[0:1], 0x10
	s_add_co_i32 s3, s3, s2
	s_cmp_eq_u32 s8, 0
	s_cselect_b32 s2, ttmp9, s3
	s_mov_b32 s3, 0
	s_mulk_i32 s2, 0x700
	s_delay_alu instid0(SALU_CYCLE_1)
	s_lshl_b64 s[8:9], s[2:3], 2
	s_wait_kmcnt 0x0
	s_add_nc_u64 s[4:5], s[4:5], s[2:3]
	s_add_nc_u64 s[6:7], s[6:7], s[8:9]
	s_clause 0xd
	global_load_u8 v2, v0, s[4:5] offset:1280
	global_load_u8 v4, v0, s[4:5] offset:1536
	global_load_b32 v1, v0, s[6:7] scale_offset
	global_load_u8 v11, v0, s[4:5] offset:256
	global_load_u8 v12, v0, s[4:5] offset:512
	global_load_u8 v13, v0, s[4:5]
	global_load_u8 v14, v0, s[4:5] offset:768
	global_load_u8 v10, v0, s[4:5] offset:1024
	global_load_b32 v3, v0, s[6:7] offset:1024 scale_offset
	global_load_b32 v5, v0, s[6:7] offset:2048 scale_offset
	;; [unrolled: 1-line block ×6, first 2 shown]
	s_wait_xcnt 0x0
	v_mul_u32_u24_e32 v0, 7, v0
	s_movk_i32 s4, 0x64
	s_wait_loadcnt 0x8
	v_perm_b32 v11, v13, v11, 0xc0c0004
	s_wait_loadcnt 0x7
	v_perm_b32 v12, v12, v14, 0xc0c0004
	s_delay_alu instid0(VALU_DEP_1)
	v_lshl_or_b32 v11, v12, 16, v11
.LBB130_1:                              ; =>This Inner Loop Header: Depth=1
	s_delay_alu instid0(VALU_DEP_1)
	v_dual_lshrrev_b32 v12, 8, v11 :: v_dual_lshrrev_b32 v13, 24, v11
	s_add_co_i32 s4, s4, -1
	ds_store_b8 v1, v11
	s_wait_loadcnt 0x5
	ds_store_b8 v3, v12
	s_wait_loadcnt 0x4
	ds_store_b8_d16_hi v5, v11
	s_wait_loadcnt 0x3
	ds_store_b8 v6, v13
	s_wait_loadcnt 0x2
	ds_store_b8 v7, v10
	s_wait_loadcnt 0x1
	ds_store_b8 v8, v2
	s_wait_loadcnt 0x0
	ds_store_b8 v9, v4
	s_wait_dscnt 0x0
	s_barrier_signal -1
	s_barrier_wait -1
	ds_load_u16 v2, v0 offset:5
	ds_load_b32 v11, v0
	ds_load_u8 v10, v0 offset:4
	s_cmp_lg_u32 s4, 0
	s_wait_dscnt 0x0
	s_barrier_signal -1
	s_barrier_wait -1
	v_lshrrev_b32_e32 v4, 8, v2
	s_cbranch_scc1 .LBB130_1
; %bb.2:
	v_lshrrev_b16 v1, 8, v2
	v_perm_b32 v2, v10, v2, 0xc0c0004
	s_add_nc_u64 s[0:1], s[0:1], s[2:3]
	s_clause 0x2
	global_store_b8 v0, v1, s[0:1] offset:6
	global_store_b16 v0, v2, s[0:1] offset:4
	global_store_b32 v0, v11, s[0:1]
	s_endpgm
	.section	.rodata,"a",@progbits
	.p2align	6, 0x0
	.amdhsa_kernel _Z6kernelI18scatter_to_blockedaLj256ELj7ELj100EEvPKT0_PKjPS1_
		.amdhsa_group_segment_fixed_size 1792
		.amdhsa_private_segment_fixed_size 0
		.amdhsa_kernarg_size 24
		.amdhsa_user_sgpr_count 2
		.amdhsa_user_sgpr_dispatch_ptr 0
		.amdhsa_user_sgpr_queue_ptr 0
		.amdhsa_user_sgpr_kernarg_segment_ptr 1
		.amdhsa_user_sgpr_dispatch_id 0
		.amdhsa_user_sgpr_kernarg_preload_length 0
		.amdhsa_user_sgpr_kernarg_preload_offset 0
		.amdhsa_user_sgpr_private_segment_size 0
		.amdhsa_wavefront_size32 1
		.amdhsa_uses_dynamic_stack 0
		.amdhsa_enable_private_segment 0
		.amdhsa_system_sgpr_workgroup_id_x 1
		.amdhsa_system_sgpr_workgroup_id_y 0
		.amdhsa_system_sgpr_workgroup_id_z 0
		.amdhsa_system_sgpr_workgroup_info 0
		.amdhsa_system_vgpr_workitem_id 0
		.amdhsa_next_free_vgpr 15
		.amdhsa_next_free_sgpr 10
		.amdhsa_named_barrier_count 0
		.amdhsa_reserve_vcc 0
		.amdhsa_float_round_mode_32 0
		.amdhsa_float_round_mode_16_64 0
		.amdhsa_float_denorm_mode_32 3
		.amdhsa_float_denorm_mode_16_64 3
		.amdhsa_fp16_overflow 0
		.amdhsa_memory_ordered 1
		.amdhsa_forward_progress 1
		.amdhsa_inst_pref_size 5
		.amdhsa_round_robin_scheduling 0
		.amdhsa_exception_fp_ieee_invalid_op 0
		.amdhsa_exception_fp_denorm_src 0
		.amdhsa_exception_fp_ieee_div_zero 0
		.amdhsa_exception_fp_ieee_overflow 0
		.amdhsa_exception_fp_ieee_underflow 0
		.amdhsa_exception_fp_ieee_inexact 0
		.amdhsa_exception_int_div_zero 0
	.end_amdhsa_kernel
	.section	.text._Z6kernelI18scatter_to_blockedaLj256ELj7ELj100EEvPKT0_PKjPS1_,"axG",@progbits,_Z6kernelI18scatter_to_blockedaLj256ELj7ELj100EEvPKT0_PKjPS1_,comdat
.Lfunc_end130:
	.size	_Z6kernelI18scatter_to_blockedaLj256ELj7ELj100EEvPKT0_PKjPS1_, .Lfunc_end130-_Z6kernelI18scatter_to_blockedaLj256ELj7ELj100EEvPKT0_PKjPS1_
                                        ; -- End function
	.set _Z6kernelI18scatter_to_blockedaLj256ELj7ELj100EEvPKT0_PKjPS1_.num_vgpr, 15
	.set _Z6kernelI18scatter_to_blockedaLj256ELj7ELj100EEvPKT0_PKjPS1_.num_agpr, 0
	.set _Z6kernelI18scatter_to_blockedaLj256ELj7ELj100EEvPKT0_PKjPS1_.numbered_sgpr, 10
	.set _Z6kernelI18scatter_to_blockedaLj256ELj7ELj100EEvPKT0_PKjPS1_.num_named_barrier, 0
	.set _Z6kernelI18scatter_to_blockedaLj256ELj7ELj100EEvPKT0_PKjPS1_.private_seg_size, 0
	.set _Z6kernelI18scatter_to_blockedaLj256ELj7ELj100EEvPKT0_PKjPS1_.uses_vcc, 0
	.set _Z6kernelI18scatter_to_blockedaLj256ELj7ELj100EEvPKT0_PKjPS1_.uses_flat_scratch, 0
	.set _Z6kernelI18scatter_to_blockedaLj256ELj7ELj100EEvPKT0_PKjPS1_.has_dyn_sized_stack, 0
	.set _Z6kernelI18scatter_to_blockedaLj256ELj7ELj100EEvPKT0_PKjPS1_.has_recursion, 0
	.set _Z6kernelI18scatter_to_blockedaLj256ELj7ELj100EEvPKT0_PKjPS1_.has_indirect_call, 0
	.section	.AMDGPU.csdata,"",@progbits
; Kernel info:
; codeLenInByte = 540
; TotalNumSgprs: 10
; NumVgprs: 15
; ScratchSize: 0
; MemoryBound: 0
; FloatMode: 240
; IeeeMode: 1
; LDSByteSize: 1792 bytes/workgroup (compile time only)
; SGPRBlocks: 0
; VGPRBlocks: 0
; NumSGPRsForWavesPerEU: 10
; NumVGPRsForWavesPerEU: 15
; NamedBarCnt: 0
; Occupancy: 16
; WaveLimiterHint : 1
; COMPUTE_PGM_RSRC2:SCRATCH_EN: 0
; COMPUTE_PGM_RSRC2:USER_SGPR: 2
; COMPUTE_PGM_RSRC2:TRAP_HANDLER: 0
; COMPUTE_PGM_RSRC2:TGID_X_EN: 1
; COMPUTE_PGM_RSRC2:TGID_Y_EN: 0
; COMPUTE_PGM_RSRC2:TGID_Z_EN: 0
; COMPUTE_PGM_RSRC2:TIDIG_COMP_CNT: 0
	.section	.text._Z6kernelI18scatter_to_blockedaLj256ELj8ELj100EEvPKT0_PKjPS1_,"axG",@progbits,_Z6kernelI18scatter_to_blockedaLj256ELj8ELj100EEvPKT0_PKjPS1_,comdat
	.protected	_Z6kernelI18scatter_to_blockedaLj256ELj8ELj100EEvPKT0_PKjPS1_ ; -- Begin function _Z6kernelI18scatter_to_blockedaLj256ELj8ELj100EEvPKT0_PKjPS1_
	.globl	_Z6kernelI18scatter_to_blockedaLj256ELj8ELj100EEvPKT0_PKjPS1_
	.p2align	8
	.type	_Z6kernelI18scatter_to_blockedaLj256ELj8ELj100EEvPKT0_PKjPS1_,@function
_Z6kernelI18scatter_to_blockedaLj256ELj8ELj100EEvPKT0_PKjPS1_: ; @_Z6kernelI18scatter_to_blockedaLj256ELj8ELj100EEvPKT0_PKjPS1_
; %bb.0:
	s_load_b128 s[4:7], s[0:1], 0x0
	s_bfe_u32 s2, ttmp6, 0x4000c
	s_and_b32 s3, ttmp6, 15
	s_add_co_i32 s2, s2, 1
	s_getreg_b32 s8, hwreg(HW_REG_IB_STS2, 6, 4)
	s_mul_i32 s2, ttmp9, s2
	v_dual_lshrrev_b32 v18, 2, v0 :: v_dual_lshlrev_b32 v2, 3, v0
	s_add_co_i32 s3, s3, s2
	s_cmp_eq_u32 s8, 0
	s_wait_xcnt 0x0
	s_load_b64 s[0:1], s[0:1], 0x10
	s_cselect_b32 s2, ttmp9, s3
	s_mov_b32 s3, 0
	s_lshl_b32 s2, s2, 11
	s_delay_alu instid0(SALU_CYCLE_1)
	s_lshl_b64 s[8:9], s[2:3], 2
	s_wait_kmcnt 0x0
	s_add_nc_u64 s[6:7], s[6:7], s[8:9]
	s_add_nc_u64 s[4:5], s[4:5], s[2:3]
	s_clause 0xf
	global_load_b32 v3, v0, s[6:7] scale_offset
	global_load_b32 v4, v0, s[6:7] offset:1024 scale_offset
	global_load_b32 v5, v0, s[6:7] offset:2048 scale_offset
	;; [unrolled: 1-line block ×7, first 2 shown]
	global_load_u8 v1, v0, s[4:5] offset:256
	global_load_u8 v11, v0, s[4:5] offset:1536
	;; [unrolled: 1-line block ×4, first 2 shown]
	global_load_u8 v14, v0, s[4:5]
	global_load_u8 v15, v0, s[4:5] offset:768
	global_load_u8 v16, v0, s[4:5] offset:1280
	; meta instruction
	global_load_u8 v17, v0, s[4:5] offset:1792
	v_and_b32_e32 v18, 60, v18
	s_wait_xcnt 0x0
	s_movk_i32 s4, 0x64
	s_wait_loadcnt 0xe
	v_dual_lshrrev_b32 v0, 5, v3 :: v_dual_lshrrev_b32 v19, 5, v4
	s_wait_loadcnt 0xc
	v_dual_lshrrev_b32 v20, 5, v5 :: v_dual_lshrrev_b32 v21, 5, v6
	;; [unrolled: 2-line block ×3, first 2 shown]
	s_wait_loadcnt 0x9
	v_lshrrev_b32_e32 v24, 5, v9
	s_wait_loadcnt 0x3
	v_perm_b32 v1, v14, v1, 0xc0c0004
	v_and_b32_e32 v14, 0x7fffffc, v0
	v_lshrrev_b32_e32 v25, 5, v10
	s_wait_loadcnt 0x2
	v_perm_b32 v13, v13, v15, 0xc0c0004
	s_wait_loadcnt 0x1
	v_perm_b32 v12, v12, v16, 0xc0c0004
	;; [unrolled: 2-line block ×3, first 2 shown]
	v_and_b32_e32 v15, 0x7fffffc, v19
	v_and_b32_e32 v16, 0x7fffffc, v20
	;; [unrolled: 1-line block ×6, first 2 shown]
	v_add_nc_u32_e32 v3, v14, v3
	v_and_b32_e32 v22, 0x7fffffc, v25
	v_lshl_or_b32 v0, v13, 16, v1
	v_lshl_or_b32 v1, v11, 16, v12
	v_dual_add_nc_u32 v4, v15, v4 :: v_dual_add_nc_u32 v5, v16, v5
	v_dual_add_nc_u32 v6, v17, v6 :: v_dual_add_nc_u32 v7, v19, v7
	;; [unrolled: 1-line block ×3, first 2 shown]
	v_add_nc_u32_e32 v10, v22, v10
	v_add_nc_u32_e32 v11, v18, v2
.LBB131_1:                              ; =>This Inner Loop Header: Depth=1
	v_dual_lshrrev_b32 v12, 8, v0 :: v_dual_lshrrev_b32 v13, 24, v0
	v_lshrrev_b32_e32 v14, 8, v1
	ds_store_b8 v3, v0
	s_add_co_i32 s4, s4, -1
	ds_store_b8 v4, v12
	ds_store_b8_d16_hi v5, v0
	v_lshrrev_b32_e32 v0, 24, v1
	ds_store_b8 v6, v13
	ds_store_b8 v7, v1
	;; [unrolled: 1-line block ×3, first 2 shown]
	ds_store_b8_d16_hi v9, v1
	ds_store_b8 v10, v0
	s_wait_dscnt 0x0
	s_barrier_signal -1
	s_barrier_wait -1
	ds_load_2addr_b32 v[0:1], v11 offset1:1
	s_cmp_lg_u32 s4, 0
	s_wait_dscnt 0x0
	s_barrier_signal -1
	s_barrier_wait -1
	s_cbranch_scc1 .LBB131_1
; %bb.2:
	s_add_nc_u64 s[0:1], s[0:1], s[2:3]
	global_store_b64 v2, v[0:1], s[0:1]
	s_endpgm
	.section	.rodata,"a",@progbits
	.p2align	6, 0x0
	.amdhsa_kernel _Z6kernelI18scatter_to_blockedaLj256ELj8ELj100EEvPKT0_PKjPS1_
		.amdhsa_group_segment_fixed_size 2112
		.amdhsa_private_segment_fixed_size 0
		.amdhsa_kernarg_size 24
		.amdhsa_user_sgpr_count 2
		.amdhsa_user_sgpr_dispatch_ptr 0
		.amdhsa_user_sgpr_queue_ptr 0
		.amdhsa_user_sgpr_kernarg_segment_ptr 1
		.amdhsa_user_sgpr_dispatch_id 0
		.amdhsa_user_sgpr_kernarg_preload_length 0
		.amdhsa_user_sgpr_kernarg_preload_offset 0
		.amdhsa_user_sgpr_private_segment_size 0
		.amdhsa_wavefront_size32 1
		.amdhsa_uses_dynamic_stack 0
		.amdhsa_enable_private_segment 0
		.amdhsa_system_sgpr_workgroup_id_x 1
		.amdhsa_system_sgpr_workgroup_id_y 0
		.amdhsa_system_sgpr_workgroup_id_z 0
		.amdhsa_system_sgpr_workgroup_info 0
		.amdhsa_system_vgpr_workitem_id 0
		.amdhsa_next_free_vgpr 26
		.amdhsa_next_free_sgpr 10
		.amdhsa_named_barrier_count 0
		.amdhsa_reserve_vcc 0
		.amdhsa_float_round_mode_32 0
		.amdhsa_float_round_mode_16_64 0
		.amdhsa_float_denorm_mode_32 3
		.amdhsa_float_denorm_mode_16_64 3
		.amdhsa_fp16_overflow 0
		.amdhsa_memory_ordered 1
		.amdhsa_forward_progress 1
		.amdhsa_inst_pref_size 6
		.amdhsa_round_robin_scheduling 0
		.amdhsa_exception_fp_ieee_invalid_op 0
		.amdhsa_exception_fp_denorm_src 0
		.amdhsa_exception_fp_ieee_div_zero 0
		.amdhsa_exception_fp_ieee_overflow 0
		.amdhsa_exception_fp_ieee_underflow 0
		.amdhsa_exception_fp_ieee_inexact 0
		.amdhsa_exception_int_div_zero 0
	.end_amdhsa_kernel
	.section	.text._Z6kernelI18scatter_to_blockedaLj256ELj8ELj100EEvPKT0_PKjPS1_,"axG",@progbits,_Z6kernelI18scatter_to_blockedaLj256ELj8ELj100EEvPKT0_PKjPS1_,comdat
.Lfunc_end131:
	.size	_Z6kernelI18scatter_to_blockedaLj256ELj8ELj100EEvPKT0_PKjPS1_, .Lfunc_end131-_Z6kernelI18scatter_to_blockedaLj256ELj8ELj100EEvPKT0_PKjPS1_
                                        ; -- End function
	.set _Z6kernelI18scatter_to_blockedaLj256ELj8ELj100EEvPKT0_PKjPS1_.num_vgpr, 26
	.set _Z6kernelI18scatter_to_blockedaLj256ELj8ELj100EEvPKT0_PKjPS1_.num_agpr, 0
	.set _Z6kernelI18scatter_to_blockedaLj256ELj8ELj100EEvPKT0_PKjPS1_.numbered_sgpr, 10
	.set _Z6kernelI18scatter_to_blockedaLj256ELj8ELj100EEvPKT0_PKjPS1_.num_named_barrier, 0
	.set _Z6kernelI18scatter_to_blockedaLj256ELj8ELj100EEvPKT0_PKjPS1_.private_seg_size, 0
	.set _Z6kernelI18scatter_to_blockedaLj256ELj8ELj100EEvPKT0_PKjPS1_.uses_vcc, 0
	.set _Z6kernelI18scatter_to_blockedaLj256ELj8ELj100EEvPKT0_PKjPS1_.uses_flat_scratch, 0
	.set _Z6kernelI18scatter_to_blockedaLj256ELj8ELj100EEvPKT0_PKjPS1_.has_dyn_sized_stack, 0
	.set _Z6kernelI18scatter_to_blockedaLj256ELj8ELj100EEvPKT0_PKjPS1_.has_recursion, 0
	.set _Z6kernelI18scatter_to_blockedaLj256ELj8ELj100EEvPKT0_PKjPS1_.has_indirect_call, 0
	.section	.AMDGPU.csdata,"",@progbits
; Kernel info:
; codeLenInByte = 704
; TotalNumSgprs: 10
; NumVgprs: 26
; ScratchSize: 0
; MemoryBound: 0
; FloatMode: 240
; IeeeMode: 1
; LDSByteSize: 2112 bytes/workgroup (compile time only)
; SGPRBlocks: 0
; VGPRBlocks: 1
; NumSGPRsForWavesPerEU: 10
; NumVGPRsForWavesPerEU: 26
; NamedBarCnt: 0
; Occupancy: 16
; WaveLimiterHint : 1
; COMPUTE_PGM_RSRC2:SCRATCH_EN: 0
; COMPUTE_PGM_RSRC2:USER_SGPR: 2
; COMPUTE_PGM_RSRC2:TRAP_HANDLER: 0
; COMPUTE_PGM_RSRC2:TGID_X_EN: 1
; COMPUTE_PGM_RSRC2:TGID_Y_EN: 0
; COMPUTE_PGM_RSRC2:TGID_Z_EN: 0
; COMPUTE_PGM_RSRC2:TIDIG_COMP_CNT: 0
	.section	.text._Z6kernelI18scatter_to_blockedxLj256ELj1ELj100EEvPKT0_PKjPS1_,"axG",@progbits,_Z6kernelI18scatter_to_blockedxLj256ELj1ELj100EEvPKT0_PKjPS1_,comdat
	.protected	_Z6kernelI18scatter_to_blockedxLj256ELj1ELj100EEvPKT0_PKjPS1_ ; -- Begin function _Z6kernelI18scatter_to_blockedxLj256ELj1ELj100EEvPKT0_PKjPS1_
	.globl	_Z6kernelI18scatter_to_blockedxLj256ELj1ELj100EEvPKT0_PKjPS1_
	.p2align	8
	.type	_Z6kernelI18scatter_to_blockedxLj256ELj1ELj100EEvPKT0_PKjPS1_,@function
_Z6kernelI18scatter_to_blockedxLj256ELj1ELj100EEvPKT0_PKjPS1_: ; @_Z6kernelI18scatter_to_blockedxLj256ELj1ELj100EEvPKT0_PKjPS1_
; %bb.0:
	s_load_b128 s[4:7], s[0:1], 0x0
	s_bfe_u32 s2, ttmp6, 0x4000c
	s_and_b32 s3, ttmp6, 15
	s_add_co_i32 s2, s2, 1
	s_getreg_b32 s8, hwreg(HW_REG_IB_STS2, 6, 4)
	s_mul_i32 s2, ttmp9, s2
	s_wait_xcnt 0x0
	s_load_b64 s[0:1], s[0:1], 0x10
	s_add_co_i32 s3, s3, s2
	s_cmp_eq_u32 s8, 0
	v_lshlrev_b32_e32 v4, 3, v0
	s_cselect_b32 s2, ttmp9, s3
	s_mov_b32 s3, 0
	s_lshl_b32 s2, s2, 8
	s_delay_alu instid0(SALU_CYCLE_1)
	s_lshl_b64 s[8:9], s[2:3], 2
	s_lshl_b64 s[2:3], s[2:3], 3
	s_wait_kmcnt 0x0
	s_add_nc_u64 s[6:7], s[6:7], s[8:9]
	s_add_nc_u64 s[4:5], s[4:5], s[2:3]
	s_clause 0x1
	global_load_b32 v1, v0, s[6:7] scale_offset
	global_load_b64 v[2:3], v0, s[4:5] scale_offset
	s_wait_xcnt 0x0
	s_movk_i32 s4, 0x64
	s_wait_loadcnt 0x1
	v_lshlrev_b32_e32 v1, 3, v1
.LBB132_1:                              ; =>This Inner Loop Header: Depth=1
	s_wait_loadcnt 0x0
	ds_store_b64 v1, v[2:3]
	s_wait_dscnt 0x0
	s_barrier_signal -1
	s_barrier_wait -1
	ds_load_b64 v[2:3], v4
	s_add_co_i32 s4, s4, -1
	s_wait_dscnt 0x0
	s_cmp_lg_u32 s4, 0
	s_barrier_signal -1
	s_barrier_wait -1
	s_cbranch_scc1 .LBB132_1
; %bb.2:
	s_add_nc_u64 s[0:1], s[0:1], s[2:3]
	global_store_b64 v0, v[2:3], s[0:1] scale_offset
	s_endpgm
	.section	.rodata,"a",@progbits
	.p2align	6, 0x0
	.amdhsa_kernel _Z6kernelI18scatter_to_blockedxLj256ELj1ELj100EEvPKT0_PKjPS1_
		.amdhsa_group_segment_fixed_size 2048
		.amdhsa_private_segment_fixed_size 0
		.amdhsa_kernarg_size 24
		.amdhsa_user_sgpr_count 2
		.amdhsa_user_sgpr_dispatch_ptr 0
		.amdhsa_user_sgpr_queue_ptr 0
		.amdhsa_user_sgpr_kernarg_segment_ptr 1
		.amdhsa_user_sgpr_dispatch_id 0
		.amdhsa_user_sgpr_kernarg_preload_length 0
		.amdhsa_user_sgpr_kernarg_preload_offset 0
		.amdhsa_user_sgpr_private_segment_size 0
		.amdhsa_wavefront_size32 1
		.amdhsa_uses_dynamic_stack 0
		.amdhsa_enable_private_segment 0
		.amdhsa_system_sgpr_workgroup_id_x 1
		.amdhsa_system_sgpr_workgroup_id_y 0
		.amdhsa_system_sgpr_workgroup_id_z 0
		.amdhsa_system_sgpr_workgroup_info 0
		.amdhsa_system_vgpr_workitem_id 0
		.amdhsa_next_free_vgpr 5
		.amdhsa_next_free_sgpr 10
		.amdhsa_named_barrier_count 0
		.amdhsa_reserve_vcc 0
		.amdhsa_float_round_mode_32 0
		.amdhsa_float_round_mode_16_64 0
		.amdhsa_float_denorm_mode_32 3
		.amdhsa_float_denorm_mode_16_64 3
		.amdhsa_fp16_overflow 0
		.amdhsa_memory_ordered 1
		.amdhsa_forward_progress 1
		.amdhsa_inst_pref_size 2
		.amdhsa_round_robin_scheduling 0
		.amdhsa_exception_fp_ieee_invalid_op 0
		.amdhsa_exception_fp_denorm_src 0
		.amdhsa_exception_fp_ieee_div_zero 0
		.amdhsa_exception_fp_ieee_overflow 0
		.amdhsa_exception_fp_ieee_underflow 0
		.amdhsa_exception_fp_ieee_inexact 0
		.amdhsa_exception_int_div_zero 0
	.end_amdhsa_kernel
	.section	.text._Z6kernelI18scatter_to_blockedxLj256ELj1ELj100EEvPKT0_PKjPS1_,"axG",@progbits,_Z6kernelI18scatter_to_blockedxLj256ELj1ELj100EEvPKT0_PKjPS1_,comdat
.Lfunc_end132:
	.size	_Z6kernelI18scatter_to_blockedxLj256ELj1ELj100EEvPKT0_PKjPS1_, .Lfunc_end132-_Z6kernelI18scatter_to_blockedxLj256ELj1ELj100EEvPKT0_PKjPS1_
                                        ; -- End function
	.set _Z6kernelI18scatter_to_blockedxLj256ELj1ELj100EEvPKT0_PKjPS1_.num_vgpr, 5
	.set _Z6kernelI18scatter_to_blockedxLj256ELj1ELj100EEvPKT0_PKjPS1_.num_agpr, 0
	.set _Z6kernelI18scatter_to_blockedxLj256ELj1ELj100EEvPKT0_PKjPS1_.numbered_sgpr, 10
	.set _Z6kernelI18scatter_to_blockedxLj256ELj1ELj100EEvPKT0_PKjPS1_.num_named_barrier, 0
	.set _Z6kernelI18scatter_to_blockedxLj256ELj1ELj100EEvPKT0_PKjPS1_.private_seg_size, 0
	.set _Z6kernelI18scatter_to_blockedxLj256ELj1ELj100EEvPKT0_PKjPS1_.uses_vcc, 0
	.set _Z6kernelI18scatter_to_blockedxLj256ELj1ELj100EEvPKT0_PKjPS1_.uses_flat_scratch, 0
	.set _Z6kernelI18scatter_to_blockedxLj256ELj1ELj100EEvPKT0_PKjPS1_.has_dyn_sized_stack, 0
	.set _Z6kernelI18scatter_to_blockedxLj256ELj1ELj100EEvPKT0_PKjPS1_.has_recursion, 0
	.set _Z6kernelI18scatter_to_blockedxLj256ELj1ELj100EEvPKT0_PKjPS1_.has_indirect_call, 0
	.section	.AMDGPU.csdata,"",@progbits
; Kernel info:
; codeLenInByte = 212
; TotalNumSgprs: 10
; NumVgprs: 5
; ScratchSize: 0
; MemoryBound: 0
; FloatMode: 240
; IeeeMode: 1
; LDSByteSize: 2048 bytes/workgroup (compile time only)
; SGPRBlocks: 0
; VGPRBlocks: 0
; NumSGPRsForWavesPerEU: 10
; NumVGPRsForWavesPerEU: 5
; NamedBarCnt: 0
; Occupancy: 16
; WaveLimiterHint : 0
; COMPUTE_PGM_RSRC2:SCRATCH_EN: 0
; COMPUTE_PGM_RSRC2:USER_SGPR: 2
; COMPUTE_PGM_RSRC2:TRAP_HANDLER: 0
; COMPUTE_PGM_RSRC2:TGID_X_EN: 1
; COMPUTE_PGM_RSRC2:TGID_Y_EN: 0
; COMPUTE_PGM_RSRC2:TGID_Z_EN: 0
; COMPUTE_PGM_RSRC2:TIDIG_COMP_CNT: 0
	.section	.text._Z6kernelI18scatter_to_blockedxLj256ELj2ELj100EEvPKT0_PKjPS1_,"axG",@progbits,_Z6kernelI18scatter_to_blockedxLj256ELj2ELj100EEvPKT0_PKjPS1_,comdat
	.protected	_Z6kernelI18scatter_to_blockedxLj256ELj2ELj100EEvPKT0_PKjPS1_ ; -- Begin function _Z6kernelI18scatter_to_blockedxLj256ELj2ELj100EEvPKT0_PKjPS1_
	.globl	_Z6kernelI18scatter_to_blockedxLj256ELj2ELj100EEvPKT0_PKjPS1_
	.p2align	8
	.type	_Z6kernelI18scatter_to_blockedxLj256ELj2ELj100EEvPKT0_PKjPS1_,@function
_Z6kernelI18scatter_to_blockedxLj256ELj2ELj100EEvPKT0_PKjPS1_: ; @_Z6kernelI18scatter_to_blockedxLj256ELj2ELj100EEvPKT0_PKjPS1_
; %bb.0:
	s_load_b128 s[4:7], s[0:1], 0x0
	s_bfe_u32 s2, ttmp6, 0x4000c
	s_and_b32 s3, ttmp6, 15
	s_add_co_i32 s2, s2, 1
	s_getreg_b32 s8, hwreg(HW_REG_IB_STS2, 6, 4)
	s_mul_i32 s2, ttmp9, s2
	s_wait_xcnt 0x0
	s_load_b64 s[0:1], s[0:1], 0x10
	s_add_co_i32 s3, s3, s2
	s_cmp_eq_u32 s8, 0
	v_lshrrev_b32_e32 v9, 1, v0
	s_cselect_b32 s2, ttmp9, s3
	s_mov_b32 s3, 0
	s_lshl_b32 s2, s2, 9
	s_delay_alu instid0(SALU_CYCLE_1)
	s_lshl_b64 s[8:9], s[2:3], 2
	s_lshl_b64 s[2:3], s[2:3], 3
	s_wait_kmcnt 0x0
	s_add_nc_u64 s[6:7], s[6:7], s[8:9]
	s_add_nc_u64 s[4:5], s[4:5], s[2:3]
	s_clause 0x3
	global_load_b32 v6, v0, s[6:7] scale_offset
	global_load_b32 v7, v0, s[6:7] offset:1024 scale_offset
	global_load_b64 v[2:3], v0, s[4:5] scale_offset
	global_load_b64 v[4:5], v0, s[4:5] offset:2048 scale_offset
	s_wait_xcnt 0x0
	s_movk_i32 s4, 0x64
	s_wait_loadcnt 0x2
	v_dual_lshrrev_b32 v1, 2, v6 :: v_dual_lshrrev_b32 v8, 2, v7
	s_delay_alu instid0(VALU_DEP_1) | instskip(NEXT) | instid1(VALU_DEP_2)
	v_and_b32_e32 v10, 0x3ffffff8, v1
	v_and_b32_e32 v8, 0x3ffffff8, v8
	v_lshlrev_b32_e32 v1, 1, v0
	v_and_b32_e32 v9, 0x78, v9
	s_delay_alu instid0(VALU_DEP_4) | instskip(NEXT) | instid1(VALU_DEP_4)
	v_lshl_add_u32 v6, v6, 3, v10
	v_lshl_add_u32 v7, v7, 3, v8
	s_delay_alu instid0(VALU_DEP_3)
	v_lshl_add_u32 v0, v0, 4, v9
.LBB133_1:                              ; =>This Inner Loop Header: Depth=1
	s_wait_loadcnt 0x1
	ds_store_b64 v6, v[2:3]
	s_wait_loadcnt 0x0
	ds_store_b64 v7, v[4:5]
	s_wait_dscnt 0x0
	s_barrier_signal -1
	s_barrier_wait -1
	ds_load_2addr_b64 v[2:5], v0 offset1:1
	s_add_co_i32 s4, s4, -1
	s_wait_dscnt 0x0
	s_cmp_lg_u32 s4, 0
	s_barrier_signal -1
	s_barrier_wait -1
	s_cbranch_scc1 .LBB133_1
; %bb.2:
	v_lshlrev_b32_e32 v0, 3, v1
	s_add_nc_u64 s[0:1], s[0:1], s[2:3]
	global_store_b128 v0, v[2:5], s[0:1]
	s_endpgm
	.section	.rodata,"a",@progbits
	.p2align	6, 0x0
	.amdhsa_kernel _Z6kernelI18scatter_to_blockedxLj256ELj2ELj100EEvPKT0_PKjPS1_
		.amdhsa_group_segment_fixed_size 4224
		.amdhsa_private_segment_fixed_size 0
		.amdhsa_kernarg_size 24
		.amdhsa_user_sgpr_count 2
		.amdhsa_user_sgpr_dispatch_ptr 0
		.amdhsa_user_sgpr_queue_ptr 0
		.amdhsa_user_sgpr_kernarg_segment_ptr 1
		.amdhsa_user_sgpr_dispatch_id 0
		.amdhsa_user_sgpr_kernarg_preload_length 0
		.amdhsa_user_sgpr_kernarg_preload_offset 0
		.amdhsa_user_sgpr_private_segment_size 0
		.amdhsa_wavefront_size32 1
		.amdhsa_uses_dynamic_stack 0
		.amdhsa_enable_private_segment 0
		.amdhsa_system_sgpr_workgroup_id_x 1
		.amdhsa_system_sgpr_workgroup_id_y 0
		.amdhsa_system_sgpr_workgroup_id_z 0
		.amdhsa_system_sgpr_workgroup_info 0
		.amdhsa_system_vgpr_workitem_id 0
		.amdhsa_next_free_vgpr 11
		.amdhsa_next_free_sgpr 10
		.amdhsa_named_barrier_count 0
		.amdhsa_reserve_vcc 0
		.amdhsa_float_round_mode_32 0
		.amdhsa_float_round_mode_16_64 0
		.amdhsa_float_denorm_mode_32 3
		.amdhsa_float_denorm_mode_16_64 3
		.amdhsa_fp16_overflow 0
		.amdhsa_memory_ordered 1
		.amdhsa_forward_progress 1
		.amdhsa_inst_pref_size 3
		.amdhsa_round_robin_scheduling 0
		.amdhsa_exception_fp_ieee_invalid_op 0
		.amdhsa_exception_fp_denorm_src 0
		.amdhsa_exception_fp_ieee_div_zero 0
		.amdhsa_exception_fp_ieee_overflow 0
		.amdhsa_exception_fp_ieee_underflow 0
		.amdhsa_exception_fp_ieee_inexact 0
		.amdhsa_exception_int_div_zero 0
	.end_amdhsa_kernel
	.section	.text._Z6kernelI18scatter_to_blockedxLj256ELj2ELj100EEvPKT0_PKjPS1_,"axG",@progbits,_Z6kernelI18scatter_to_blockedxLj256ELj2ELj100EEvPKT0_PKjPS1_,comdat
.Lfunc_end133:
	.size	_Z6kernelI18scatter_to_blockedxLj256ELj2ELj100EEvPKT0_PKjPS1_, .Lfunc_end133-_Z6kernelI18scatter_to_blockedxLj256ELj2ELj100EEvPKT0_PKjPS1_
                                        ; -- End function
	.set _Z6kernelI18scatter_to_blockedxLj256ELj2ELj100EEvPKT0_PKjPS1_.num_vgpr, 11
	.set _Z6kernelI18scatter_to_blockedxLj256ELj2ELj100EEvPKT0_PKjPS1_.num_agpr, 0
	.set _Z6kernelI18scatter_to_blockedxLj256ELj2ELj100EEvPKT0_PKjPS1_.numbered_sgpr, 10
	.set _Z6kernelI18scatter_to_blockedxLj256ELj2ELj100EEvPKT0_PKjPS1_.num_named_barrier, 0
	.set _Z6kernelI18scatter_to_blockedxLj256ELj2ELj100EEvPKT0_PKjPS1_.private_seg_size, 0
	.set _Z6kernelI18scatter_to_blockedxLj256ELj2ELj100EEvPKT0_PKjPS1_.uses_vcc, 0
	.set _Z6kernelI18scatter_to_blockedxLj256ELj2ELj100EEvPKT0_PKjPS1_.uses_flat_scratch, 0
	.set _Z6kernelI18scatter_to_blockedxLj256ELj2ELj100EEvPKT0_PKjPS1_.has_dyn_sized_stack, 0
	.set _Z6kernelI18scatter_to_blockedxLj256ELj2ELj100EEvPKT0_PKjPS1_.has_recursion, 0
	.set _Z6kernelI18scatter_to_blockedxLj256ELj2ELj100EEvPKT0_PKjPS1_.has_indirect_call, 0
	.section	.AMDGPU.csdata,"",@progbits
; Kernel info:
; codeLenInByte = 324
; TotalNumSgprs: 10
; NumVgprs: 11
; ScratchSize: 0
; MemoryBound: 0
; FloatMode: 240
; IeeeMode: 1
; LDSByteSize: 4224 bytes/workgroup (compile time only)
; SGPRBlocks: 0
; VGPRBlocks: 0
; NumSGPRsForWavesPerEU: 10
; NumVGPRsForWavesPerEU: 11
; NamedBarCnt: 0
; Occupancy: 16
; WaveLimiterHint : 1
; COMPUTE_PGM_RSRC2:SCRATCH_EN: 0
; COMPUTE_PGM_RSRC2:USER_SGPR: 2
; COMPUTE_PGM_RSRC2:TRAP_HANDLER: 0
; COMPUTE_PGM_RSRC2:TGID_X_EN: 1
; COMPUTE_PGM_RSRC2:TGID_Y_EN: 0
; COMPUTE_PGM_RSRC2:TGID_Z_EN: 0
; COMPUTE_PGM_RSRC2:TIDIG_COMP_CNT: 0
	.section	.text._Z6kernelI18scatter_to_blockedxLj256ELj3ELj100EEvPKT0_PKjPS1_,"axG",@progbits,_Z6kernelI18scatter_to_blockedxLj256ELj3ELj100EEvPKT0_PKjPS1_,comdat
	.protected	_Z6kernelI18scatter_to_blockedxLj256ELj3ELj100EEvPKT0_PKjPS1_ ; -- Begin function _Z6kernelI18scatter_to_blockedxLj256ELj3ELj100EEvPKT0_PKjPS1_
	.globl	_Z6kernelI18scatter_to_blockedxLj256ELj3ELj100EEvPKT0_PKjPS1_
	.p2align	8
	.type	_Z6kernelI18scatter_to_blockedxLj256ELj3ELj100EEvPKT0_PKjPS1_,@function
_Z6kernelI18scatter_to_blockedxLj256ELj3ELj100EEvPKT0_PKjPS1_: ; @_Z6kernelI18scatter_to_blockedxLj256ELj3ELj100EEvPKT0_PKjPS1_
; %bb.0:
	s_load_b128 s[4:7], s[0:1], 0x0
	s_bfe_u32 s2, ttmp6, 0x4000c
	s_and_b32 s3, ttmp6, 15
	s_add_co_i32 s2, s2, 1
	s_getreg_b32 s8, hwreg(HW_REG_IB_STS2, 6, 4)
	s_mul_i32 s2, ttmp9, s2
	s_wait_xcnt 0x0
	s_load_b64 s[0:1], s[0:1], 0x10
	s_add_co_i32 s3, s3, s2
	s_cmp_eq_u32 s8, 0
	s_cselect_b32 s2, ttmp9, s3
	s_mov_b32 s3, 0
	s_mulk_i32 s2, 0x300
	s_delay_alu instid0(SALU_CYCLE_1)
	s_lshl_b64 s[8:9], s[2:3], 2
	s_lshl_b64 s[2:3], s[2:3], 3
	s_wait_kmcnt 0x0
	s_add_nc_u64 s[6:7], s[6:7], s[8:9]
	s_add_nc_u64 s[4:5], s[4:5], s[2:3]
	s_clause 0x5
	global_load_b32 v1, v0, s[6:7] scale_offset
	global_load_b32 v9, v0, s[6:7] offset:1024 scale_offset
	global_load_b32 v10, v0, s[6:7] offset:2048 scale_offset
	global_load_b64 v[2:3], v0, s[4:5] scale_offset
	global_load_b64 v[4:5], v0, s[4:5] offset:2048 scale_offset
	global_load_b64 v[6:7], v0, s[4:5] offset:4096 scale_offset
	s_wait_xcnt 0x0
	v_mul_u32_u24_e32 v0, 3, v0
	s_movk_i32 s4, 0x64
	s_wait_loadcnt 0x5
	v_lshlrev_b32_e32 v8, 3, v1
	s_wait_loadcnt 0x4
	v_dual_lshlrev_b32 v9, 3, v9 :: v_dual_lshlrev_b32 v1, 3, v0
	s_wait_loadcnt 0x3
	v_lshlrev_b32_e32 v10, 3, v10
.LBB134_1:                              ; =>This Inner Loop Header: Depth=1
	s_wait_loadcnt 0x2
	ds_store_b64 v8, v[2:3]
	s_wait_loadcnt 0x1
	ds_store_b64 v9, v[4:5]
	;; [unrolled: 2-line block ×3, first 2 shown]
	s_wait_dscnt 0x0
	s_barrier_signal -1
	s_barrier_wait -1
	ds_load_2addr_b64 v[2:5], v1 offset1:1
	ds_load_b64 v[6:7], v1 offset:16
	s_add_co_i32 s4, s4, -1
	s_wait_dscnt 0x0
	s_cmp_lg_u32 s4, 0
	s_barrier_signal -1
	s_barrier_wait -1
	s_cbranch_scc1 .LBB134_1
; %bb.2:
	s_add_nc_u64 s[0:1], s[0:1], s[2:3]
	s_clause 0x1
	global_store_b128 v1, v[2:5], s[0:1]
	global_store_b64 v0, v[6:7], s[0:1] offset:16 scale_offset
	s_endpgm
	.section	.rodata,"a",@progbits
	.p2align	6, 0x0
	.amdhsa_kernel _Z6kernelI18scatter_to_blockedxLj256ELj3ELj100EEvPKT0_PKjPS1_
		.amdhsa_group_segment_fixed_size 6144
		.amdhsa_private_segment_fixed_size 0
		.amdhsa_kernarg_size 24
		.amdhsa_user_sgpr_count 2
		.amdhsa_user_sgpr_dispatch_ptr 0
		.amdhsa_user_sgpr_queue_ptr 0
		.amdhsa_user_sgpr_kernarg_segment_ptr 1
		.amdhsa_user_sgpr_dispatch_id 0
		.amdhsa_user_sgpr_kernarg_preload_length 0
		.amdhsa_user_sgpr_kernarg_preload_offset 0
		.amdhsa_user_sgpr_private_segment_size 0
		.amdhsa_wavefront_size32 1
		.amdhsa_uses_dynamic_stack 0
		.amdhsa_enable_private_segment 0
		.amdhsa_system_sgpr_workgroup_id_x 1
		.amdhsa_system_sgpr_workgroup_id_y 0
		.amdhsa_system_sgpr_workgroup_id_z 0
		.amdhsa_system_sgpr_workgroup_info 0
		.amdhsa_system_vgpr_workitem_id 0
		.amdhsa_next_free_vgpr 11
		.amdhsa_next_free_sgpr 10
		.amdhsa_named_barrier_count 0
		.amdhsa_reserve_vcc 0
		.amdhsa_float_round_mode_32 0
		.amdhsa_float_round_mode_16_64 0
		.amdhsa_float_denorm_mode_32 3
		.amdhsa_float_denorm_mode_16_64 3
		.amdhsa_fp16_overflow 0
		.amdhsa_memory_ordered 1
		.amdhsa_forward_progress 1
		.amdhsa_inst_pref_size 3
		.amdhsa_round_robin_scheduling 0
		.amdhsa_exception_fp_ieee_invalid_op 0
		.amdhsa_exception_fp_denorm_src 0
		.amdhsa_exception_fp_ieee_div_zero 0
		.amdhsa_exception_fp_ieee_overflow 0
		.amdhsa_exception_fp_ieee_underflow 0
		.amdhsa_exception_fp_ieee_inexact 0
		.amdhsa_exception_int_div_zero 0
	.end_amdhsa_kernel
	.section	.text._Z6kernelI18scatter_to_blockedxLj256ELj3ELj100EEvPKT0_PKjPS1_,"axG",@progbits,_Z6kernelI18scatter_to_blockedxLj256ELj3ELj100EEvPKT0_PKjPS1_,comdat
.Lfunc_end134:
	.size	_Z6kernelI18scatter_to_blockedxLj256ELj3ELj100EEvPKT0_PKjPS1_, .Lfunc_end134-_Z6kernelI18scatter_to_blockedxLj256ELj3ELj100EEvPKT0_PKjPS1_
                                        ; -- End function
	.set _Z6kernelI18scatter_to_blockedxLj256ELj3ELj100EEvPKT0_PKjPS1_.num_vgpr, 11
	.set _Z6kernelI18scatter_to_blockedxLj256ELj3ELj100EEvPKT0_PKjPS1_.num_agpr, 0
	.set _Z6kernelI18scatter_to_blockedxLj256ELj3ELj100EEvPKT0_PKjPS1_.numbered_sgpr, 10
	.set _Z6kernelI18scatter_to_blockedxLj256ELj3ELj100EEvPKT0_PKjPS1_.num_named_barrier, 0
	.set _Z6kernelI18scatter_to_blockedxLj256ELj3ELj100EEvPKT0_PKjPS1_.private_seg_size, 0
	.set _Z6kernelI18scatter_to_blockedxLj256ELj3ELj100EEvPKT0_PKjPS1_.uses_vcc, 0
	.set _Z6kernelI18scatter_to_blockedxLj256ELj3ELj100EEvPKT0_PKjPS1_.uses_flat_scratch, 0
	.set _Z6kernelI18scatter_to_blockedxLj256ELj3ELj100EEvPKT0_PKjPS1_.has_dyn_sized_stack, 0
	.set _Z6kernelI18scatter_to_blockedxLj256ELj3ELj100EEvPKT0_PKjPS1_.has_recursion, 0
	.set _Z6kernelI18scatter_to_blockedxLj256ELj3ELj100EEvPKT0_PKjPS1_.has_indirect_call, 0
	.section	.AMDGPU.csdata,"",@progbits
; Kernel info:
; codeLenInByte = 332
; TotalNumSgprs: 10
; NumVgprs: 11
; ScratchSize: 0
; MemoryBound: 0
; FloatMode: 240
; IeeeMode: 1
; LDSByteSize: 6144 bytes/workgroup (compile time only)
; SGPRBlocks: 0
; VGPRBlocks: 0
; NumSGPRsForWavesPerEU: 10
; NumVGPRsForWavesPerEU: 11
; NamedBarCnt: 0
; Occupancy: 16
; WaveLimiterHint : 1
; COMPUTE_PGM_RSRC2:SCRATCH_EN: 0
; COMPUTE_PGM_RSRC2:USER_SGPR: 2
; COMPUTE_PGM_RSRC2:TRAP_HANDLER: 0
; COMPUTE_PGM_RSRC2:TGID_X_EN: 1
; COMPUTE_PGM_RSRC2:TGID_Y_EN: 0
; COMPUTE_PGM_RSRC2:TGID_Z_EN: 0
; COMPUTE_PGM_RSRC2:TIDIG_COMP_CNT: 0
	.section	.text._Z6kernelI18scatter_to_blockedxLj256ELj4ELj100EEvPKT0_PKjPS1_,"axG",@progbits,_Z6kernelI18scatter_to_blockedxLj256ELj4ELj100EEvPKT0_PKjPS1_,comdat
	.protected	_Z6kernelI18scatter_to_blockedxLj256ELj4ELj100EEvPKT0_PKjPS1_ ; -- Begin function _Z6kernelI18scatter_to_blockedxLj256ELj4ELj100EEvPKT0_PKjPS1_
	.globl	_Z6kernelI18scatter_to_blockedxLj256ELj4ELj100EEvPKT0_PKjPS1_
	.p2align	8
	.type	_Z6kernelI18scatter_to_blockedxLj256ELj4ELj100EEvPKT0_PKjPS1_,@function
_Z6kernelI18scatter_to_blockedxLj256ELj4ELj100EEvPKT0_PKjPS1_: ; @_Z6kernelI18scatter_to_blockedxLj256ELj4ELj100EEvPKT0_PKjPS1_
; %bb.0:
	s_load_b128 s[4:7], s[0:1], 0x0
	s_bfe_u32 s2, ttmp6, 0x4000c
	s_and_b32 s3, ttmp6, 15
	s_add_co_i32 s2, s2, 1
	s_getreg_b32 s8, hwreg(HW_REG_IB_STS2, 6, 4)
	s_mul_i32 s2, ttmp9, s2
	s_wait_xcnt 0x0
	s_load_b64 s[0:1], s[0:1], 0x10
	s_add_co_i32 s3, s3, s2
	s_cmp_eq_u32 s8, 0
	v_and_b32_e32 v18, 0xf8, v0
	s_cselect_b32 s2, ttmp9, s3
	s_mov_b32 s3, 0
	s_lshl_b32 s2, s2, 10
	v_lshlrev_b32_e32 v1, 2, v0
	s_lshl_b64 s[8:9], s[2:3], 2
	s_lshl_b64 s[2:3], s[2:3], 3
	s_wait_kmcnt 0x0
	s_add_nc_u64 s[6:7], s[6:7], s[8:9]
	s_add_nc_u64 s[4:5], s[4:5], s[2:3]
	s_clause 0x7
	global_load_b32 v10, v0, s[6:7] scale_offset
	global_load_b32 v11, v0, s[6:7] offset:1024 scale_offset
	global_load_b32 v12, v0, s[6:7] offset:2048 scale_offset
	;; [unrolled: 1-line block ×3, first 2 shown]
	global_load_b64 v[2:3], v0, s[4:5] scale_offset
	global_load_b64 v[4:5], v0, s[4:5] offset:2048 scale_offset
	global_load_b64 v[6:7], v0, s[4:5] offset:4096 scale_offset
	;; [unrolled: 1-line block ×3, first 2 shown]
	s_wait_xcnt 0x0
	v_lshl_add_u32 v0, v0, 5, v18
	s_movk_i32 s4, 0x64
	s_wait_loadcnt 0x6
	v_dual_lshrrev_b32 v14, 2, v10 :: v_dual_lshrrev_b32 v15, 2, v11
	s_wait_loadcnt 0x4
	v_dual_lshrrev_b32 v16, 2, v12 :: v_dual_lshrrev_b32 v17, 2, v13
	s_delay_alu instid0(VALU_DEP_2) | instskip(NEXT) | instid1(VALU_DEP_3)
	v_and_b32_e32 v14, 0x3ffffff8, v14
	v_and_b32_e32 v15, 0x3ffffff8, v15
	s_delay_alu instid0(VALU_DEP_3) | instskip(NEXT) | instid1(VALU_DEP_4)
	v_and_b32_e32 v16, 0x3ffffff8, v16
	v_and_b32_e32 v17, 0x3ffffff8, v17
	s_delay_alu instid0(VALU_DEP_4) | instskip(NEXT) | instid1(VALU_DEP_4)
	v_lshl_add_u32 v10, v10, 3, v14
	v_lshl_add_u32 v11, v11, 3, v15
	s_delay_alu instid0(VALU_DEP_4) | instskip(NEXT) | instid1(VALU_DEP_4)
	v_lshl_add_u32 v12, v12, 3, v16
	v_lshl_add_u32 v13, v13, 3, v17
.LBB135_1:                              ; =>This Inner Loop Header: Depth=1
	s_wait_loadcnt 0x3
	ds_store_b64 v10, v[2:3]
	s_wait_loadcnt 0x2
	ds_store_b64 v11, v[4:5]
	;; [unrolled: 2-line block ×4, first 2 shown]
	s_wait_dscnt 0x0
	s_barrier_signal -1
	s_barrier_wait -1
	ds_load_2addr_b64 v[2:5], v0 offset1:1
	ds_load_2addr_b64 v[6:9], v0 offset0:2 offset1:3
	s_add_co_i32 s4, s4, -1
	s_wait_dscnt 0x0
	s_cmp_lg_u32 s4, 0
	s_barrier_signal -1
	s_barrier_wait -1
	s_cbranch_scc1 .LBB135_1
; %bb.2:
	v_lshlrev_b32_e32 v0, 3, v1
	s_add_nc_u64 s[0:1], s[0:1], s[2:3]
	s_clause 0x1
	global_store_b128 v0, v[2:5], s[0:1]
	global_store_b128 v0, v[6:9], s[0:1] offset:16
	s_endpgm
	.section	.rodata,"a",@progbits
	.p2align	6, 0x0
	.amdhsa_kernel _Z6kernelI18scatter_to_blockedxLj256ELj4ELj100EEvPKT0_PKjPS1_
		.amdhsa_group_segment_fixed_size 8448
		.amdhsa_private_segment_fixed_size 0
		.amdhsa_kernarg_size 24
		.amdhsa_user_sgpr_count 2
		.amdhsa_user_sgpr_dispatch_ptr 0
		.amdhsa_user_sgpr_queue_ptr 0
		.amdhsa_user_sgpr_kernarg_segment_ptr 1
		.amdhsa_user_sgpr_dispatch_id 0
		.amdhsa_user_sgpr_kernarg_preload_length 0
		.amdhsa_user_sgpr_kernarg_preload_offset 0
		.amdhsa_user_sgpr_private_segment_size 0
		.amdhsa_wavefront_size32 1
		.amdhsa_uses_dynamic_stack 0
		.amdhsa_enable_private_segment 0
		.amdhsa_system_sgpr_workgroup_id_x 1
		.amdhsa_system_sgpr_workgroup_id_y 0
		.amdhsa_system_sgpr_workgroup_id_z 0
		.amdhsa_system_sgpr_workgroup_info 0
		.amdhsa_system_vgpr_workitem_id 0
		.amdhsa_next_free_vgpr 19
		.amdhsa_next_free_sgpr 10
		.amdhsa_named_barrier_count 0
		.amdhsa_reserve_vcc 0
		.amdhsa_float_round_mode_32 0
		.amdhsa_float_round_mode_16_64 0
		.amdhsa_float_denorm_mode_32 3
		.amdhsa_float_denorm_mode_16_64 3
		.amdhsa_fp16_overflow 0
		.amdhsa_memory_ordered 1
		.amdhsa_forward_progress 1
		.amdhsa_inst_pref_size 4
		.amdhsa_round_robin_scheduling 0
		.amdhsa_exception_fp_ieee_invalid_op 0
		.amdhsa_exception_fp_denorm_src 0
		.amdhsa_exception_fp_ieee_div_zero 0
		.amdhsa_exception_fp_ieee_overflow 0
		.amdhsa_exception_fp_ieee_underflow 0
		.amdhsa_exception_fp_ieee_inexact 0
		.amdhsa_exception_int_div_zero 0
	.end_amdhsa_kernel
	.section	.text._Z6kernelI18scatter_to_blockedxLj256ELj4ELj100EEvPKT0_PKjPS1_,"axG",@progbits,_Z6kernelI18scatter_to_blockedxLj256ELj4ELj100EEvPKT0_PKjPS1_,comdat
.Lfunc_end135:
	.size	_Z6kernelI18scatter_to_blockedxLj256ELj4ELj100EEvPKT0_PKjPS1_, .Lfunc_end135-_Z6kernelI18scatter_to_blockedxLj256ELj4ELj100EEvPKT0_PKjPS1_
                                        ; -- End function
	.set _Z6kernelI18scatter_to_blockedxLj256ELj4ELj100EEvPKT0_PKjPS1_.num_vgpr, 19
	.set _Z6kernelI18scatter_to_blockedxLj256ELj4ELj100EEvPKT0_PKjPS1_.num_agpr, 0
	.set _Z6kernelI18scatter_to_blockedxLj256ELj4ELj100EEvPKT0_PKjPS1_.numbered_sgpr, 10
	.set _Z6kernelI18scatter_to_blockedxLj256ELj4ELj100EEvPKT0_PKjPS1_.num_named_barrier, 0
	.set _Z6kernelI18scatter_to_blockedxLj256ELj4ELj100EEvPKT0_PKjPS1_.private_seg_size, 0
	.set _Z6kernelI18scatter_to_blockedxLj256ELj4ELj100EEvPKT0_PKjPS1_.uses_vcc, 0
	.set _Z6kernelI18scatter_to_blockedxLj256ELj4ELj100EEvPKT0_PKjPS1_.uses_flat_scratch, 0
	.set _Z6kernelI18scatter_to_blockedxLj256ELj4ELj100EEvPKT0_PKjPS1_.has_dyn_sized_stack, 0
	.set _Z6kernelI18scatter_to_blockedxLj256ELj4ELj100EEvPKT0_PKjPS1_.has_recursion, 0
	.set _Z6kernelI18scatter_to_blockedxLj256ELj4ELj100EEvPKT0_PKjPS1_.has_indirect_call, 0
	.section	.AMDGPU.csdata,"",@progbits
; Kernel info:
; codeLenInByte = 464
; TotalNumSgprs: 10
; NumVgprs: 19
; ScratchSize: 0
; MemoryBound: 0
; FloatMode: 240
; IeeeMode: 1
; LDSByteSize: 8448 bytes/workgroup (compile time only)
; SGPRBlocks: 0
; VGPRBlocks: 1
; NumSGPRsForWavesPerEU: 10
; NumVGPRsForWavesPerEU: 19
; NamedBarCnt: 0
; Occupancy: 16
; WaveLimiterHint : 1
; COMPUTE_PGM_RSRC2:SCRATCH_EN: 0
; COMPUTE_PGM_RSRC2:USER_SGPR: 2
; COMPUTE_PGM_RSRC2:TRAP_HANDLER: 0
; COMPUTE_PGM_RSRC2:TGID_X_EN: 1
; COMPUTE_PGM_RSRC2:TGID_Y_EN: 0
; COMPUTE_PGM_RSRC2:TGID_Z_EN: 0
; COMPUTE_PGM_RSRC2:TIDIG_COMP_CNT: 0
	.section	.text._Z6kernelI18scatter_to_blockedxLj256ELj7ELj100EEvPKT0_PKjPS1_,"axG",@progbits,_Z6kernelI18scatter_to_blockedxLj256ELj7ELj100EEvPKT0_PKjPS1_,comdat
	.protected	_Z6kernelI18scatter_to_blockedxLj256ELj7ELj100EEvPKT0_PKjPS1_ ; -- Begin function _Z6kernelI18scatter_to_blockedxLj256ELj7ELj100EEvPKT0_PKjPS1_
	.globl	_Z6kernelI18scatter_to_blockedxLj256ELj7ELj100EEvPKT0_PKjPS1_
	.p2align	8
	.type	_Z6kernelI18scatter_to_blockedxLj256ELj7ELj100EEvPKT0_PKjPS1_,@function
_Z6kernelI18scatter_to_blockedxLj256ELj7ELj100EEvPKT0_PKjPS1_: ; @_Z6kernelI18scatter_to_blockedxLj256ELj7ELj100EEvPKT0_PKjPS1_
; %bb.0:
	s_load_b128 s[4:7], s[0:1], 0x0
	s_bfe_u32 s2, ttmp6, 0x4000c
	s_and_b32 s3, ttmp6, 15
	s_add_co_i32 s2, s2, 1
	s_getreg_b32 s8, hwreg(HW_REG_IB_STS2, 6, 4)
	s_mul_i32 s2, ttmp9, s2
	s_wait_xcnt 0x0
	s_load_b64 s[0:1], s[0:1], 0x10
	s_add_co_i32 s3, s3, s2
	s_cmp_eq_u32 s8, 0
	s_cselect_b32 s2, ttmp9, s3
	s_mov_b32 s3, 0
	s_mulk_i32 s2, 0x700
	s_delay_alu instid0(SALU_CYCLE_1)
	s_lshl_b64 s[8:9], s[2:3], 2
	s_lshl_b64 s[2:3], s[2:3], 3
	s_wait_kmcnt 0x0
	s_add_nc_u64 s[6:7], s[6:7], s[8:9]
	s_add_nc_u64 s[4:5], s[4:5], s[2:3]
	s_clause 0xd
	global_load_b32 v1, v0, s[6:7] scale_offset
	global_load_b32 v17, v0, s[6:7] offset:1024 scale_offset
	global_load_b32 v18, v0, s[6:7] offset:2048 scale_offset
	;; [unrolled: 1-line block ×6, first 2 shown]
	global_load_b64 v[6:7], v0, s[4:5] offset:8192 scale_offset
	global_load_b64 v[8:9], v0, s[4:5] offset:10240 scale_offset
	;; [unrolled: 1-line block ×3, first 2 shown]
	global_load_b64 v[2:3], v0, s[4:5] scale_offset
	global_load_b64 v[4:5], v0, s[4:5] offset:2048 scale_offset
	global_load_b64 v[10:11], v0, s[4:5] offset:4096 scale_offset
	;; [unrolled: 1-line block ×3, first 2 shown]
	s_wait_xcnt 0x0
	v_mul_u32_u24_e32 v0, 7, v0
	s_movk_i32 s4, 0x64
	s_wait_loadcnt 0xd
	v_lshlrev_b32_e32 v16, 3, v1
	s_wait_loadcnt 0xb
	v_dual_lshlrev_b32 v17, 3, v17 :: v_dual_lshlrev_b32 v18, 3, v18
	s_wait_loadcnt 0x9
	v_dual_lshlrev_b32 v19, 3, v19 :: v_dual_lshlrev_b32 v20, 3, v20
	;; [unrolled: 2-line block ×3, first 2 shown]
	v_lshlrev_b32_e32 v1, 3, v0
.LBB136_1:                              ; =>This Inner Loop Header: Depth=1
	s_wait_loadcnt 0x3
	ds_store_b64 v16, v[2:3]
	s_wait_loadcnt 0x2
	ds_store_b64 v17, v[4:5]
	;; [unrolled: 2-line block ×4, first 2 shown]
	ds_store_b64 v20, v[6:7]
	ds_store_b64 v21, v[8:9]
	ds_store_b64 v22, v[14:15]
	s_wait_dscnt 0x0
	s_barrier_signal -1
	s_barrier_wait -1
	ds_load_2addr_b64 v[2:5], v1 offset1:1
	ds_load_2addr_b64 v[10:13], v1 offset0:2 offset1:3
	ds_load_2addr_b64 v[6:9], v1 offset0:4 offset1:5
	ds_load_b64 v[14:15], v1 offset:48
	s_add_co_i32 s4, s4, -1
	s_wait_dscnt 0x0
	s_cmp_lg_u32 s4, 0
	s_barrier_signal -1
	s_barrier_wait -1
	s_cbranch_scc1 .LBB136_1
; %bb.2:
	s_add_nc_u64 s[0:1], s[0:1], s[2:3]
	s_clause 0x3
	global_store_b128 v1, v[10:13], s[0:1] offset:16
	global_store_b128 v1, v[6:9], s[0:1] offset:32
	global_store_b128 v1, v[2:5], s[0:1]
	global_store_b64 v0, v[14:15], s[0:1] offset:48 scale_offset
	s_endpgm
	.section	.rodata,"a",@progbits
	.p2align	6, 0x0
	.amdhsa_kernel _Z6kernelI18scatter_to_blockedxLj256ELj7ELj100EEvPKT0_PKjPS1_
		.amdhsa_group_segment_fixed_size 14336
		.amdhsa_private_segment_fixed_size 0
		.amdhsa_kernarg_size 24
		.amdhsa_user_sgpr_count 2
		.amdhsa_user_sgpr_dispatch_ptr 0
		.amdhsa_user_sgpr_queue_ptr 0
		.amdhsa_user_sgpr_kernarg_segment_ptr 1
		.amdhsa_user_sgpr_dispatch_id 0
		.amdhsa_user_sgpr_kernarg_preload_length 0
		.amdhsa_user_sgpr_kernarg_preload_offset 0
		.amdhsa_user_sgpr_private_segment_size 0
		.amdhsa_wavefront_size32 1
		.amdhsa_uses_dynamic_stack 0
		.amdhsa_enable_private_segment 0
		.amdhsa_system_sgpr_workgroup_id_x 1
		.amdhsa_system_sgpr_workgroup_id_y 0
		.amdhsa_system_sgpr_workgroup_id_z 0
		.amdhsa_system_sgpr_workgroup_info 0
		.amdhsa_system_vgpr_workitem_id 0
		.amdhsa_next_free_vgpr 23
		.amdhsa_next_free_sgpr 10
		.amdhsa_named_barrier_count 0
		.amdhsa_reserve_vcc 0
		.amdhsa_float_round_mode_32 0
		.amdhsa_float_round_mode_16_64 0
		.amdhsa_float_denorm_mode_32 3
		.amdhsa_float_denorm_mode_16_64 3
		.amdhsa_fp16_overflow 0
		.amdhsa_memory_ordered 1
		.amdhsa_forward_progress 1
		.amdhsa_inst_pref_size 5
		.amdhsa_round_robin_scheduling 0
		.amdhsa_exception_fp_ieee_invalid_op 0
		.amdhsa_exception_fp_denorm_src 0
		.amdhsa_exception_fp_ieee_div_zero 0
		.amdhsa_exception_fp_ieee_overflow 0
		.amdhsa_exception_fp_ieee_underflow 0
		.amdhsa_exception_fp_ieee_inexact 0
		.amdhsa_exception_int_div_zero 0
	.end_amdhsa_kernel
	.section	.text._Z6kernelI18scatter_to_blockedxLj256ELj7ELj100EEvPKT0_PKjPS1_,"axG",@progbits,_Z6kernelI18scatter_to_blockedxLj256ELj7ELj100EEvPKT0_PKjPS1_,comdat
.Lfunc_end136:
	.size	_Z6kernelI18scatter_to_blockedxLj256ELj7ELj100EEvPKT0_PKjPS1_, .Lfunc_end136-_Z6kernelI18scatter_to_blockedxLj256ELj7ELj100EEvPKT0_PKjPS1_
                                        ; -- End function
	.set _Z6kernelI18scatter_to_blockedxLj256ELj7ELj100EEvPKT0_PKjPS1_.num_vgpr, 23
	.set _Z6kernelI18scatter_to_blockedxLj256ELj7ELj100EEvPKT0_PKjPS1_.num_agpr, 0
	.set _Z6kernelI18scatter_to_blockedxLj256ELj7ELj100EEvPKT0_PKjPS1_.numbered_sgpr, 10
	.set _Z6kernelI18scatter_to_blockedxLj256ELj7ELj100EEvPKT0_PKjPS1_.num_named_barrier, 0
	.set _Z6kernelI18scatter_to_blockedxLj256ELj7ELj100EEvPKT0_PKjPS1_.private_seg_size, 0
	.set _Z6kernelI18scatter_to_blockedxLj256ELj7ELj100EEvPKT0_PKjPS1_.uses_vcc, 0
	.set _Z6kernelI18scatter_to_blockedxLj256ELj7ELj100EEvPKT0_PKjPS1_.uses_flat_scratch, 0
	.set _Z6kernelI18scatter_to_blockedxLj256ELj7ELj100EEvPKT0_PKjPS1_.has_dyn_sized_stack, 0
	.set _Z6kernelI18scatter_to_blockedxLj256ELj7ELj100EEvPKT0_PKjPS1_.has_recursion, 0
	.set _Z6kernelI18scatter_to_blockedxLj256ELj7ELj100EEvPKT0_PKjPS1_.has_indirect_call, 0
	.section	.AMDGPU.csdata,"",@progbits
; Kernel info:
; codeLenInByte = 532
; TotalNumSgprs: 10
; NumVgprs: 23
; ScratchSize: 0
; MemoryBound: 1
; FloatMode: 240
; IeeeMode: 1
; LDSByteSize: 14336 bytes/workgroup (compile time only)
; SGPRBlocks: 0
; VGPRBlocks: 1
; NumSGPRsForWavesPerEU: 10
; NumVGPRsForWavesPerEU: 23
; NamedBarCnt: 0
; Occupancy: 16
; WaveLimiterHint : 1
; COMPUTE_PGM_RSRC2:SCRATCH_EN: 0
; COMPUTE_PGM_RSRC2:USER_SGPR: 2
; COMPUTE_PGM_RSRC2:TRAP_HANDLER: 0
; COMPUTE_PGM_RSRC2:TGID_X_EN: 1
; COMPUTE_PGM_RSRC2:TGID_Y_EN: 0
; COMPUTE_PGM_RSRC2:TGID_Z_EN: 0
; COMPUTE_PGM_RSRC2:TIDIG_COMP_CNT: 0
	.section	.text._Z6kernelI18scatter_to_blockedxLj256ELj8ELj100EEvPKT0_PKjPS1_,"axG",@progbits,_Z6kernelI18scatter_to_blockedxLj256ELj8ELj100EEvPKT0_PKjPS1_,comdat
	.protected	_Z6kernelI18scatter_to_blockedxLj256ELj8ELj100EEvPKT0_PKjPS1_ ; -- Begin function _Z6kernelI18scatter_to_blockedxLj256ELj8ELj100EEvPKT0_PKjPS1_
	.globl	_Z6kernelI18scatter_to_blockedxLj256ELj8ELj100EEvPKT0_PKjPS1_
	.p2align	8
	.type	_Z6kernelI18scatter_to_blockedxLj256ELj8ELj100EEvPKT0_PKjPS1_,@function
_Z6kernelI18scatter_to_blockedxLj256ELj8ELj100EEvPKT0_PKjPS1_: ; @_Z6kernelI18scatter_to_blockedxLj256ELj8ELj100EEvPKT0_PKjPS1_
; %bb.0:
	s_load_b128 s[4:7], s[0:1], 0x0
	s_bfe_u32 s2, ttmp6, 0x4000c
	s_and_b32 s3, ttmp6, 15
	s_add_co_i32 s2, s2, 1
	s_getreg_b32 s8, hwreg(HW_REG_IB_STS2, 6, 4)
	s_mul_i32 s2, ttmp9, s2
	s_wait_xcnt 0x0
	s_load_b64 s[0:1], s[0:1], 0x10
	s_add_co_i32 s3, s3, s2
	s_cmp_eq_u32 s8, 0
	v_dual_lshlrev_b32 v26, 1, v0 :: v_dual_lshlrev_b32 v1, 3, v0
	s_cselect_b32 s2, ttmp9, s3
	s_mov_b32 s3, 0
	s_lshl_b32 s2, s2, 11
	s_delay_alu instid0(VALU_DEP_1)
	v_and_b32_e32 v26, 0x1f8, v26
	s_lshl_b64 s[8:9], s[2:3], 2
	s_lshl_b64 s[2:3], s[2:3], 3
	s_wait_kmcnt 0x0
	s_add_nc_u64 s[6:7], s[6:7], s[8:9]
	s_add_nc_u64 s[4:5], s[4:5], s[2:3]
	s_clause 0xf
	global_load_b32 v18, v0, s[6:7] scale_offset
	global_load_b32 v19, v0, s[6:7] offset:1024 scale_offset
	global_load_b32 v20, v0, s[6:7] offset:2048 scale_offset
	;; [unrolled: 1-line block ×7, first 2 shown]
	global_load_b64 v[2:3], v0, s[4:5] scale_offset
	global_load_b64 v[4:5], v0, s[4:5] offset:2048 scale_offset
	global_load_b64 v[6:7], v0, s[4:5] offset:4096 scale_offset
	global_load_b64 v[8:9], v0, s[4:5] offset:6144 scale_offset
	global_load_b64 v[10:11], v0, s[4:5] offset:8192 scale_offset
	global_load_b64 v[12:13], v0, s[4:5] offset:10240 scale_offset
	global_load_b64 v[14:15], v0, s[4:5] offset:12288 scale_offset
	global_load_b64 v[16:17], v0, s[4:5] offset:14336 scale_offset
	s_wait_xcnt 0x0
	v_lshl_add_u32 v0, v0, 6, v26
	s_movk_i32 s4, 0x64
	s_wait_loadcnt 0xe
	v_dual_lshrrev_b32 v27, 2, v18 :: v_dual_lshrrev_b32 v28, 2, v19
	s_wait_loadcnt 0xc
	v_dual_lshrrev_b32 v29, 2, v20 :: v_dual_lshrrev_b32 v30, 2, v21
	s_wait_loadcnt 0xa
	v_dual_lshrrev_b32 v31, 2, v22 :: v_dual_lshrrev_b32 v32, 2, v23
	s_wait_loadcnt 0x8
	v_dual_lshrrev_b32 v33, 2, v24 :: v_dual_lshrrev_b32 v34, 2, v25
	v_and_b32_e32 v27, 0x3ffffff8, v27
	v_and_b32_e32 v28, 0x3ffffff8, v28
	;; [unrolled: 1-line block ×8, first 2 shown]
	v_lshl_add_u32 v18, v18, 3, v27
	v_lshl_add_u32 v19, v19, 3, v28
	v_lshl_add_u32 v20, v20, 3, v29
	v_lshl_add_u32 v21, v21, 3, v30
	v_lshl_add_u32 v22, v22, 3, v31
	v_lshl_add_u32 v23, v23, 3, v32
	v_lshl_add_u32 v24, v24, 3, v33
	v_lshl_add_u32 v25, v25, 3, v34
.LBB137_1:                              ; =>This Inner Loop Header: Depth=1
	s_wait_loadcnt 0x7
	ds_store_b64 v18, v[2:3]
	s_wait_loadcnt 0x6
	ds_store_b64 v19, v[4:5]
	;; [unrolled: 2-line block ×8, first 2 shown]
	s_wait_dscnt 0x0
	s_barrier_signal -1
	s_barrier_wait -1
	ds_load_2addr_b64 v[2:5], v0 offset1:1
	ds_load_2addr_b64 v[6:9], v0 offset0:2 offset1:3
	ds_load_2addr_b64 v[10:13], v0 offset0:4 offset1:5
	ds_load_2addr_b64 v[14:17], v0 offset0:6 offset1:7
	s_add_co_i32 s4, s4, -1
	s_wait_dscnt 0x0
	s_cmp_lg_u32 s4, 0
	s_barrier_signal -1
	s_barrier_wait -1
	s_cbranch_scc1 .LBB137_1
; %bb.2:
	v_lshlrev_b32_e32 v0, 3, v1
	s_add_nc_u64 s[0:1], s[0:1], s[2:3]
	s_clause 0x3
	global_store_b128 v0, v[2:5], s[0:1]
	global_store_b128 v0, v[6:9], s[0:1] offset:16
	global_store_b128 v0, v[10:13], s[0:1] offset:32
	;; [unrolled: 1-line block ×3, first 2 shown]
	s_endpgm
	.section	.rodata,"a",@progbits
	.p2align	6, 0x0
	.amdhsa_kernel _Z6kernelI18scatter_to_blockedxLj256ELj8ELj100EEvPKT0_PKjPS1_
		.amdhsa_group_segment_fixed_size 16896
		.amdhsa_private_segment_fixed_size 0
		.amdhsa_kernarg_size 24
		.amdhsa_user_sgpr_count 2
		.amdhsa_user_sgpr_dispatch_ptr 0
		.amdhsa_user_sgpr_queue_ptr 0
		.amdhsa_user_sgpr_kernarg_segment_ptr 1
		.amdhsa_user_sgpr_dispatch_id 0
		.amdhsa_user_sgpr_kernarg_preload_length 0
		.amdhsa_user_sgpr_kernarg_preload_offset 0
		.amdhsa_user_sgpr_private_segment_size 0
		.amdhsa_wavefront_size32 1
		.amdhsa_uses_dynamic_stack 0
		.amdhsa_enable_private_segment 0
		.amdhsa_system_sgpr_workgroup_id_x 1
		.amdhsa_system_sgpr_workgroup_id_y 0
		.amdhsa_system_sgpr_workgroup_id_z 0
		.amdhsa_system_sgpr_workgroup_info 0
		.amdhsa_system_vgpr_workitem_id 0
		.amdhsa_next_free_vgpr 35
		.amdhsa_next_free_sgpr 10
		.amdhsa_named_barrier_count 0
		.amdhsa_reserve_vcc 0
		.amdhsa_float_round_mode_32 0
		.amdhsa_float_round_mode_16_64 0
		.amdhsa_float_denorm_mode_32 3
		.amdhsa_float_denorm_mode_16_64 3
		.amdhsa_fp16_overflow 0
		.amdhsa_memory_ordered 1
		.amdhsa_forward_progress 1
		.amdhsa_inst_pref_size 6
		.amdhsa_round_robin_scheduling 0
		.amdhsa_exception_fp_ieee_invalid_op 0
		.amdhsa_exception_fp_denorm_src 0
		.amdhsa_exception_fp_ieee_div_zero 0
		.amdhsa_exception_fp_ieee_overflow 0
		.amdhsa_exception_fp_ieee_underflow 0
		.amdhsa_exception_fp_ieee_inexact 0
		.amdhsa_exception_int_div_zero 0
	.end_amdhsa_kernel
	.section	.text._Z6kernelI18scatter_to_blockedxLj256ELj8ELj100EEvPKT0_PKjPS1_,"axG",@progbits,_Z6kernelI18scatter_to_blockedxLj256ELj8ELj100EEvPKT0_PKjPS1_,comdat
.Lfunc_end137:
	.size	_Z6kernelI18scatter_to_blockedxLj256ELj8ELj100EEvPKT0_PKjPS1_, .Lfunc_end137-_Z6kernelI18scatter_to_blockedxLj256ELj8ELj100EEvPKT0_PKjPS1_
                                        ; -- End function
	.set _Z6kernelI18scatter_to_blockedxLj256ELj8ELj100EEvPKT0_PKjPS1_.num_vgpr, 35
	.set _Z6kernelI18scatter_to_blockedxLj256ELj8ELj100EEvPKT0_PKjPS1_.num_agpr, 0
	.set _Z6kernelI18scatter_to_blockedxLj256ELj8ELj100EEvPKT0_PKjPS1_.numbered_sgpr, 10
	.set _Z6kernelI18scatter_to_blockedxLj256ELj8ELj100EEvPKT0_PKjPS1_.num_named_barrier, 0
	.set _Z6kernelI18scatter_to_blockedxLj256ELj8ELj100EEvPKT0_PKjPS1_.private_seg_size, 0
	.set _Z6kernelI18scatter_to_blockedxLj256ELj8ELj100EEvPKT0_PKjPS1_.uses_vcc, 0
	.set _Z6kernelI18scatter_to_blockedxLj256ELj8ELj100EEvPKT0_PKjPS1_.uses_flat_scratch, 0
	.set _Z6kernelI18scatter_to_blockedxLj256ELj8ELj100EEvPKT0_PKjPS1_.has_dyn_sized_stack, 0
	.set _Z6kernelI18scatter_to_blockedxLj256ELj8ELj100EEvPKT0_PKjPS1_.has_recursion, 0
	.set _Z6kernelI18scatter_to_blockedxLj256ELj8ELj100EEvPKT0_PKjPS1_.has_indirect_call, 0
	.section	.AMDGPU.csdata,"",@progbits
; Kernel info:
; codeLenInByte = 740
; TotalNumSgprs: 10
; NumVgprs: 35
; ScratchSize: 0
; MemoryBound: 1
; FloatMode: 240
; IeeeMode: 1
; LDSByteSize: 16896 bytes/workgroup (compile time only)
; SGPRBlocks: 0
; VGPRBlocks: 2
; NumSGPRsForWavesPerEU: 10
; NumVGPRsForWavesPerEU: 35
; NamedBarCnt: 0
; Occupancy: 16
; WaveLimiterHint : 1
; COMPUTE_PGM_RSRC2:SCRATCH_EN: 0
; COMPUTE_PGM_RSRC2:USER_SGPR: 2
; COMPUTE_PGM_RSRC2:TRAP_HANDLER: 0
; COMPUTE_PGM_RSRC2:TGID_X_EN: 1
; COMPUTE_PGM_RSRC2:TGID_Y_EN: 0
; COMPUTE_PGM_RSRC2:TGID_Z_EN: 0
; COMPUTE_PGM_RSRC2:TIDIG_COMP_CNT: 0
	.section	.text._Z6kernelI18scatter_to_blockedN15benchmark_utils11custom_typeIffEELj256ELj1ELj100EEvPKT0_PKjPS4_,"axG",@progbits,_Z6kernelI18scatter_to_blockedN15benchmark_utils11custom_typeIffEELj256ELj1ELj100EEvPKT0_PKjPS4_,comdat
	.protected	_Z6kernelI18scatter_to_blockedN15benchmark_utils11custom_typeIffEELj256ELj1ELj100EEvPKT0_PKjPS4_ ; -- Begin function _Z6kernelI18scatter_to_blockedN15benchmark_utils11custom_typeIffEELj256ELj1ELj100EEvPKT0_PKjPS4_
	.globl	_Z6kernelI18scatter_to_blockedN15benchmark_utils11custom_typeIffEELj256ELj1ELj100EEvPKT0_PKjPS4_
	.p2align	8
	.type	_Z6kernelI18scatter_to_blockedN15benchmark_utils11custom_typeIffEELj256ELj1ELj100EEvPKT0_PKjPS4_,@function
_Z6kernelI18scatter_to_blockedN15benchmark_utils11custom_typeIffEELj256ELj1ELj100EEvPKT0_PKjPS4_: ; @_Z6kernelI18scatter_to_blockedN15benchmark_utils11custom_typeIffEELj256ELj1ELj100EEvPKT0_PKjPS4_
; %bb.0:
	s_load_b128 s[4:7], s[0:1], 0x0
	s_bfe_u32 s2, ttmp6, 0x4000c
	s_and_b32 s3, ttmp6, 15
	s_add_co_i32 s2, s2, 1
	s_getreg_b32 s8, hwreg(HW_REG_IB_STS2, 6, 4)
	s_mul_i32 s2, ttmp9, s2
	s_wait_xcnt 0x0
	s_load_b64 s[0:1], s[0:1], 0x10
	s_add_co_i32 s3, s3, s2
	s_cmp_eq_u32 s8, 0
	v_lshlrev_b32_e32 v4, 3, v0
	s_cselect_b32 s2, ttmp9, s3
	s_mov_b32 s3, 0
	s_lshl_b32 s2, s2, 8
	s_delay_alu instid0(SALU_CYCLE_1)
	s_lshl_b64 s[8:9], s[2:3], 2
	s_lshl_b64 s[2:3], s[2:3], 3
	s_wait_kmcnt 0x0
	s_add_nc_u64 s[6:7], s[6:7], s[8:9]
	s_add_nc_u64 s[4:5], s[4:5], s[2:3]
	s_clause 0x1
	global_load_b32 v1, v0, s[6:7] scale_offset
	global_load_b64 v[2:3], v0, s[4:5] scale_offset
	s_wait_xcnt 0x0
	s_movk_i32 s4, 0x64
	s_wait_loadcnt 0x1
	v_lshlrev_b32_e32 v1, 3, v1
.LBB138_1:                              ; =>This Inner Loop Header: Depth=1
	s_wait_loadcnt 0x0
	ds_store_b64 v1, v[2:3]
	s_wait_dscnt 0x0
	s_barrier_signal -1
	s_barrier_wait -1
	ds_load_b64 v[2:3], v4
	s_add_co_i32 s4, s4, -1
	s_wait_dscnt 0x0
	s_cmp_lg_u32 s4, 0
	s_barrier_signal -1
	s_barrier_wait -1
	s_cbranch_scc1 .LBB138_1
; %bb.2:
	s_add_nc_u64 s[0:1], s[0:1], s[2:3]
	global_store_b64 v0, v[2:3], s[0:1] scale_offset
	s_endpgm
	.section	.rodata,"a",@progbits
	.p2align	6, 0x0
	.amdhsa_kernel _Z6kernelI18scatter_to_blockedN15benchmark_utils11custom_typeIffEELj256ELj1ELj100EEvPKT0_PKjPS4_
		.amdhsa_group_segment_fixed_size 2048
		.amdhsa_private_segment_fixed_size 0
		.amdhsa_kernarg_size 24
		.amdhsa_user_sgpr_count 2
		.amdhsa_user_sgpr_dispatch_ptr 0
		.amdhsa_user_sgpr_queue_ptr 0
		.amdhsa_user_sgpr_kernarg_segment_ptr 1
		.amdhsa_user_sgpr_dispatch_id 0
		.amdhsa_user_sgpr_kernarg_preload_length 0
		.amdhsa_user_sgpr_kernarg_preload_offset 0
		.amdhsa_user_sgpr_private_segment_size 0
		.amdhsa_wavefront_size32 1
		.amdhsa_uses_dynamic_stack 0
		.amdhsa_enable_private_segment 0
		.amdhsa_system_sgpr_workgroup_id_x 1
		.amdhsa_system_sgpr_workgroup_id_y 0
		.amdhsa_system_sgpr_workgroup_id_z 0
		.amdhsa_system_sgpr_workgroup_info 0
		.amdhsa_system_vgpr_workitem_id 0
		.amdhsa_next_free_vgpr 5
		.amdhsa_next_free_sgpr 10
		.amdhsa_named_barrier_count 0
		.amdhsa_reserve_vcc 0
		.amdhsa_float_round_mode_32 0
		.amdhsa_float_round_mode_16_64 0
		.amdhsa_float_denorm_mode_32 3
		.amdhsa_float_denorm_mode_16_64 3
		.amdhsa_fp16_overflow 0
		.amdhsa_memory_ordered 1
		.amdhsa_forward_progress 1
		.amdhsa_inst_pref_size 2
		.amdhsa_round_robin_scheduling 0
		.amdhsa_exception_fp_ieee_invalid_op 0
		.amdhsa_exception_fp_denorm_src 0
		.amdhsa_exception_fp_ieee_div_zero 0
		.amdhsa_exception_fp_ieee_overflow 0
		.amdhsa_exception_fp_ieee_underflow 0
		.amdhsa_exception_fp_ieee_inexact 0
		.amdhsa_exception_int_div_zero 0
	.end_amdhsa_kernel
	.section	.text._Z6kernelI18scatter_to_blockedN15benchmark_utils11custom_typeIffEELj256ELj1ELj100EEvPKT0_PKjPS4_,"axG",@progbits,_Z6kernelI18scatter_to_blockedN15benchmark_utils11custom_typeIffEELj256ELj1ELj100EEvPKT0_PKjPS4_,comdat
.Lfunc_end138:
	.size	_Z6kernelI18scatter_to_blockedN15benchmark_utils11custom_typeIffEELj256ELj1ELj100EEvPKT0_PKjPS4_, .Lfunc_end138-_Z6kernelI18scatter_to_blockedN15benchmark_utils11custom_typeIffEELj256ELj1ELj100EEvPKT0_PKjPS4_
                                        ; -- End function
	.set _Z6kernelI18scatter_to_blockedN15benchmark_utils11custom_typeIffEELj256ELj1ELj100EEvPKT0_PKjPS4_.num_vgpr, 5
	.set _Z6kernelI18scatter_to_blockedN15benchmark_utils11custom_typeIffEELj256ELj1ELj100EEvPKT0_PKjPS4_.num_agpr, 0
	.set _Z6kernelI18scatter_to_blockedN15benchmark_utils11custom_typeIffEELj256ELj1ELj100EEvPKT0_PKjPS4_.numbered_sgpr, 10
	.set _Z6kernelI18scatter_to_blockedN15benchmark_utils11custom_typeIffEELj256ELj1ELj100EEvPKT0_PKjPS4_.num_named_barrier, 0
	.set _Z6kernelI18scatter_to_blockedN15benchmark_utils11custom_typeIffEELj256ELj1ELj100EEvPKT0_PKjPS4_.private_seg_size, 0
	.set _Z6kernelI18scatter_to_blockedN15benchmark_utils11custom_typeIffEELj256ELj1ELj100EEvPKT0_PKjPS4_.uses_vcc, 0
	.set _Z6kernelI18scatter_to_blockedN15benchmark_utils11custom_typeIffEELj256ELj1ELj100EEvPKT0_PKjPS4_.uses_flat_scratch, 0
	.set _Z6kernelI18scatter_to_blockedN15benchmark_utils11custom_typeIffEELj256ELj1ELj100EEvPKT0_PKjPS4_.has_dyn_sized_stack, 0
	.set _Z6kernelI18scatter_to_blockedN15benchmark_utils11custom_typeIffEELj256ELj1ELj100EEvPKT0_PKjPS4_.has_recursion, 0
	.set _Z6kernelI18scatter_to_blockedN15benchmark_utils11custom_typeIffEELj256ELj1ELj100EEvPKT0_PKjPS4_.has_indirect_call, 0
	.section	.AMDGPU.csdata,"",@progbits
; Kernel info:
; codeLenInByte = 212
; TotalNumSgprs: 10
; NumVgprs: 5
; ScratchSize: 0
; MemoryBound: 0
; FloatMode: 240
; IeeeMode: 1
; LDSByteSize: 2048 bytes/workgroup (compile time only)
; SGPRBlocks: 0
; VGPRBlocks: 0
; NumSGPRsForWavesPerEU: 10
; NumVGPRsForWavesPerEU: 5
; NamedBarCnt: 0
; Occupancy: 16
; WaveLimiterHint : 0
; COMPUTE_PGM_RSRC2:SCRATCH_EN: 0
; COMPUTE_PGM_RSRC2:USER_SGPR: 2
; COMPUTE_PGM_RSRC2:TRAP_HANDLER: 0
; COMPUTE_PGM_RSRC2:TGID_X_EN: 1
; COMPUTE_PGM_RSRC2:TGID_Y_EN: 0
; COMPUTE_PGM_RSRC2:TGID_Z_EN: 0
; COMPUTE_PGM_RSRC2:TIDIG_COMP_CNT: 0
	.section	.text._Z6kernelI18scatter_to_blockedN15benchmark_utils11custom_typeIffEELj256ELj2ELj100EEvPKT0_PKjPS4_,"axG",@progbits,_Z6kernelI18scatter_to_blockedN15benchmark_utils11custom_typeIffEELj256ELj2ELj100EEvPKT0_PKjPS4_,comdat
	.protected	_Z6kernelI18scatter_to_blockedN15benchmark_utils11custom_typeIffEELj256ELj2ELj100EEvPKT0_PKjPS4_ ; -- Begin function _Z6kernelI18scatter_to_blockedN15benchmark_utils11custom_typeIffEELj256ELj2ELj100EEvPKT0_PKjPS4_
	.globl	_Z6kernelI18scatter_to_blockedN15benchmark_utils11custom_typeIffEELj256ELj2ELj100EEvPKT0_PKjPS4_
	.p2align	8
	.type	_Z6kernelI18scatter_to_blockedN15benchmark_utils11custom_typeIffEELj256ELj2ELj100EEvPKT0_PKjPS4_,@function
_Z6kernelI18scatter_to_blockedN15benchmark_utils11custom_typeIffEELj256ELj2ELj100EEvPKT0_PKjPS4_: ; @_Z6kernelI18scatter_to_blockedN15benchmark_utils11custom_typeIffEELj256ELj2ELj100EEvPKT0_PKjPS4_
; %bb.0:
	s_load_b128 s[4:7], s[0:1], 0x0
	s_bfe_u32 s2, ttmp6, 0x4000c
	s_and_b32 s3, ttmp6, 15
	s_add_co_i32 s2, s2, 1
	s_getreg_b32 s8, hwreg(HW_REG_IB_STS2, 6, 4)
	s_mul_i32 s2, ttmp9, s2
	s_wait_xcnt 0x0
	s_load_b64 s[0:1], s[0:1], 0x10
	s_add_co_i32 s3, s3, s2
	s_cmp_eq_u32 s8, 0
	v_lshrrev_b32_e32 v9, 1, v0
	s_cselect_b32 s2, ttmp9, s3
	s_mov_b32 s3, 0
	s_lshl_b32 s2, s2, 9
	s_delay_alu instid0(SALU_CYCLE_1)
	s_lshl_b64 s[8:9], s[2:3], 2
	s_lshl_b64 s[2:3], s[2:3], 3
	s_wait_kmcnt 0x0
	s_add_nc_u64 s[6:7], s[6:7], s[8:9]
	s_add_nc_u64 s[4:5], s[4:5], s[2:3]
	s_clause 0x3
	global_load_b32 v6, v0, s[6:7] scale_offset
	global_load_b32 v7, v0, s[6:7] offset:1024 scale_offset
	global_load_b64 v[2:3], v0, s[4:5] scale_offset
	global_load_b64 v[4:5], v0, s[4:5] offset:2048 scale_offset
	s_wait_xcnt 0x0
	s_movk_i32 s4, 0x64
	s_wait_loadcnt 0x2
	v_dual_lshrrev_b32 v1, 2, v6 :: v_dual_lshrrev_b32 v8, 2, v7
	s_delay_alu instid0(VALU_DEP_1) | instskip(NEXT) | instid1(VALU_DEP_2)
	v_and_b32_e32 v10, 0x3ffffff8, v1
	v_and_b32_e32 v8, 0x3ffffff8, v8
	v_lshlrev_b32_e32 v1, 1, v0
	v_and_b32_e32 v9, 0x78, v9
	s_delay_alu instid0(VALU_DEP_4) | instskip(NEXT) | instid1(VALU_DEP_4)
	v_lshl_add_u32 v6, v6, 3, v10
	v_lshl_add_u32 v7, v7, 3, v8
	s_delay_alu instid0(VALU_DEP_3)
	v_lshl_add_u32 v0, v0, 4, v9
.LBB139_1:                              ; =>This Inner Loop Header: Depth=1
	s_wait_loadcnt 0x1
	ds_store_b64 v6, v[2:3]
	s_wait_loadcnt 0x0
	ds_store_b64 v7, v[4:5]
	s_wait_dscnt 0x0
	s_barrier_signal -1
	s_barrier_wait -1
	ds_load_2addr_b64 v[2:5], v0 offset1:1
	s_add_co_i32 s4, s4, -1
	s_wait_dscnt 0x0
	s_cmp_lg_u32 s4, 0
	s_barrier_signal -1
	s_barrier_wait -1
	s_cbranch_scc1 .LBB139_1
; %bb.2:
	v_lshlrev_b32_e32 v0, 3, v1
	s_add_nc_u64 s[0:1], s[0:1], s[2:3]
	global_store_b128 v0, v[2:5], s[0:1]
	s_endpgm
	.section	.rodata,"a",@progbits
	.p2align	6, 0x0
	.amdhsa_kernel _Z6kernelI18scatter_to_blockedN15benchmark_utils11custom_typeIffEELj256ELj2ELj100EEvPKT0_PKjPS4_
		.amdhsa_group_segment_fixed_size 4224
		.amdhsa_private_segment_fixed_size 0
		.amdhsa_kernarg_size 24
		.amdhsa_user_sgpr_count 2
		.amdhsa_user_sgpr_dispatch_ptr 0
		.amdhsa_user_sgpr_queue_ptr 0
		.amdhsa_user_sgpr_kernarg_segment_ptr 1
		.amdhsa_user_sgpr_dispatch_id 0
		.amdhsa_user_sgpr_kernarg_preload_length 0
		.amdhsa_user_sgpr_kernarg_preload_offset 0
		.amdhsa_user_sgpr_private_segment_size 0
		.amdhsa_wavefront_size32 1
		.amdhsa_uses_dynamic_stack 0
		.amdhsa_enable_private_segment 0
		.amdhsa_system_sgpr_workgroup_id_x 1
		.amdhsa_system_sgpr_workgroup_id_y 0
		.amdhsa_system_sgpr_workgroup_id_z 0
		.amdhsa_system_sgpr_workgroup_info 0
		.amdhsa_system_vgpr_workitem_id 0
		.amdhsa_next_free_vgpr 11
		.amdhsa_next_free_sgpr 10
		.amdhsa_named_barrier_count 0
		.amdhsa_reserve_vcc 0
		.amdhsa_float_round_mode_32 0
		.amdhsa_float_round_mode_16_64 0
		.amdhsa_float_denorm_mode_32 3
		.amdhsa_float_denorm_mode_16_64 3
		.amdhsa_fp16_overflow 0
		.amdhsa_memory_ordered 1
		.amdhsa_forward_progress 1
		.amdhsa_inst_pref_size 3
		.amdhsa_round_robin_scheduling 0
		.amdhsa_exception_fp_ieee_invalid_op 0
		.amdhsa_exception_fp_denorm_src 0
		.amdhsa_exception_fp_ieee_div_zero 0
		.amdhsa_exception_fp_ieee_overflow 0
		.amdhsa_exception_fp_ieee_underflow 0
		.amdhsa_exception_fp_ieee_inexact 0
		.amdhsa_exception_int_div_zero 0
	.end_amdhsa_kernel
	.section	.text._Z6kernelI18scatter_to_blockedN15benchmark_utils11custom_typeIffEELj256ELj2ELj100EEvPKT0_PKjPS4_,"axG",@progbits,_Z6kernelI18scatter_to_blockedN15benchmark_utils11custom_typeIffEELj256ELj2ELj100EEvPKT0_PKjPS4_,comdat
.Lfunc_end139:
	.size	_Z6kernelI18scatter_to_blockedN15benchmark_utils11custom_typeIffEELj256ELj2ELj100EEvPKT0_PKjPS4_, .Lfunc_end139-_Z6kernelI18scatter_to_blockedN15benchmark_utils11custom_typeIffEELj256ELj2ELj100EEvPKT0_PKjPS4_
                                        ; -- End function
	.set _Z6kernelI18scatter_to_blockedN15benchmark_utils11custom_typeIffEELj256ELj2ELj100EEvPKT0_PKjPS4_.num_vgpr, 11
	.set _Z6kernelI18scatter_to_blockedN15benchmark_utils11custom_typeIffEELj256ELj2ELj100EEvPKT0_PKjPS4_.num_agpr, 0
	.set _Z6kernelI18scatter_to_blockedN15benchmark_utils11custom_typeIffEELj256ELj2ELj100EEvPKT0_PKjPS4_.numbered_sgpr, 10
	.set _Z6kernelI18scatter_to_blockedN15benchmark_utils11custom_typeIffEELj256ELj2ELj100EEvPKT0_PKjPS4_.num_named_barrier, 0
	.set _Z6kernelI18scatter_to_blockedN15benchmark_utils11custom_typeIffEELj256ELj2ELj100EEvPKT0_PKjPS4_.private_seg_size, 0
	.set _Z6kernelI18scatter_to_blockedN15benchmark_utils11custom_typeIffEELj256ELj2ELj100EEvPKT0_PKjPS4_.uses_vcc, 0
	.set _Z6kernelI18scatter_to_blockedN15benchmark_utils11custom_typeIffEELj256ELj2ELj100EEvPKT0_PKjPS4_.uses_flat_scratch, 0
	.set _Z6kernelI18scatter_to_blockedN15benchmark_utils11custom_typeIffEELj256ELj2ELj100EEvPKT0_PKjPS4_.has_dyn_sized_stack, 0
	.set _Z6kernelI18scatter_to_blockedN15benchmark_utils11custom_typeIffEELj256ELj2ELj100EEvPKT0_PKjPS4_.has_recursion, 0
	.set _Z6kernelI18scatter_to_blockedN15benchmark_utils11custom_typeIffEELj256ELj2ELj100EEvPKT0_PKjPS4_.has_indirect_call, 0
	.section	.AMDGPU.csdata,"",@progbits
; Kernel info:
; codeLenInByte = 324
; TotalNumSgprs: 10
; NumVgprs: 11
; ScratchSize: 0
; MemoryBound: 0
; FloatMode: 240
; IeeeMode: 1
; LDSByteSize: 4224 bytes/workgroup (compile time only)
; SGPRBlocks: 0
; VGPRBlocks: 0
; NumSGPRsForWavesPerEU: 10
; NumVGPRsForWavesPerEU: 11
; NamedBarCnt: 0
; Occupancy: 16
; WaveLimiterHint : 1
; COMPUTE_PGM_RSRC2:SCRATCH_EN: 0
; COMPUTE_PGM_RSRC2:USER_SGPR: 2
; COMPUTE_PGM_RSRC2:TRAP_HANDLER: 0
; COMPUTE_PGM_RSRC2:TGID_X_EN: 1
; COMPUTE_PGM_RSRC2:TGID_Y_EN: 0
; COMPUTE_PGM_RSRC2:TGID_Z_EN: 0
; COMPUTE_PGM_RSRC2:TIDIG_COMP_CNT: 0
	.section	.text._Z6kernelI18scatter_to_blockedN15benchmark_utils11custom_typeIffEELj256ELj3ELj100EEvPKT0_PKjPS4_,"axG",@progbits,_Z6kernelI18scatter_to_blockedN15benchmark_utils11custom_typeIffEELj256ELj3ELj100EEvPKT0_PKjPS4_,comdat
	.protected	_Z6kernelI18scatter_to_blockedN15benchmark_utils11custom_typeIffEELj256ELj3ELj100EEvPKT0_PKjPS4_ ; -- Begin function _Z6kernelI18scatter_to_blockedN15benchmark_utils11custom_typeIffEELj256ELj3ELj100EEvPKT0_PKjPS4_
	.globl	_Z6kernelI18scatter_to_blockedN15benchmark_utils11custom_typeIffEELj256ELj3ELj100EEvPKT0_PKjPS4_
	.p2align	8
	.type	_Z6kernelI18scatter_to_blockedN15benchmark_utils11custom_typeIffEELj256ELj3ELj100EEvPKT0_PKjPS4_,@function
_Z6kernelI18scatter_to_blockedN15benchmark_utils11custom_typeIffEELj256ELj3ELj100EEvPKT0_PKjPS4_: ; @_Z6kernelI18scatter_to_blockedN15benchmark_utils11custom_typeIffEELj256ELj3ELj100EEvPKT0_PKjPS4_
; %bb.0:
	s_load_b128 s[4:7], s[0:1], 0x0
	s_bfe_u32 s2, ttmp6, 0x4000c
	s_and_b32 s3, ttmp6, 15
	s_add_co_i32 s2, s2, 1
	s_getreg_b32 s8, hwreg(HW_REG_IB_STS2, 6, 4)
	s_mul_i32 s2, ttmp9, s2
	s_wait_xcnt 0x0
	s_load_b64 s[0:1], s[0:1], 0x10
	s_add_co_i32 s3, s3, s2
	s_cmp_eq_u32 s8, 0
	s_cselect_b32 s2, ttmp9, s3
	s_mov_b32 s3, 0
	s_mulk_i32 s2, 0x300
	s_delay_alu instid0(SALU_CYCLE_1)
	s_lshl_b64 s[8:9], s[2:3], 2
	s_lshl_b64 s[2:3], s[2:3], 3
	s_wait_kmcnt 0x0
	s_add_nc_u64 s[6:7], s[6:7], s[8:9]
	s_add_nc_u64 s[4:5], s[4:5], s[2:3]
	s_clause 0x5
	global_load_b32 v1, v0, s[6:7] scale_offset
	global_load_b32 v9, v0, s[6:7] offset:1024 scale_offset
	global_load_b32 v10, v0, s[6:7] offset:2048 scale_offset
	global_load_b64 v[2:3], v0, s[4:5] scale_offset
	global_load_b64 v[4:5], v0, s[4:5] offset:2048 scale_offset
	global_load_b64 v[6:7], v0, s[4:5] offset:4096 scale_offset
	s_wait_xcnt 0x0
	v_mul_u32_u24_e32 v0, 3, v0
	s_movk_i32 s4, 0x64
	s_wait_loadcnt 0x5
	v_lshlrev_b32_e32 v8, 3, v1
	s_wait_loadcnt 0x4
	v_dual_lshlrev_b32 v9, 3, v9 :: v_dual_lshlrev_b32 v1, 3, v0
	s_wait_loadcnt 0x3
	v_lshlrev_b32_e32 v10, 3, v10
.LBB140_1:                              ; =>This Inner Loop Header: Depth=1
	s_wait_loadcnt 0x2
	ds_store_b64 v8, v[2:3]
	s_wait_loadcnt 0x1
	ds_store_b64 v9, v[4:5]
	;; [unrolled: 2-line block ×3, first 2 shown]
	s_wait_dscnt 0x0
	s_barrier_signal -1
	s_barrier_wait -1
	ds_load_2addr_b64 v[2:5], v1 offset1:1
	ds_load_b64 v[6:7], v1 offset:16
	s_add_co_i32 s4, s4, -1
	s_wait_dscnt 0x0
	s_cmp_lg_u32 s4, 0
	s_barrier_signal -1
	s_barrier_wait -1
	s_cbranch_scc1 .LBB140_1
; %bb.2:
	s_add_nc_u64 s[0:1], s[0:1], s[2:3]
	s_clause 0x1
	global_store_b128 v1, v[2:5], s[0:1]
	global_store_b64 v0, v[6:7], s[0:1] offset:16 scale_offset
	s_endpgm
	.section	.rodata,"a",@progbits
	.p2align	6, 0x0
	.amdhsa_kernel _Z6kernelI18scatter_to_blockedN15benchmark_utils11custom_typeIffEELj256ELj3ELj100EEvPKT0_PKjPS4_
		.amdhsa_group_segment_fixed_size 6144
		.amdhsa_private_segment_fixed_size 0
		.amdhsa_kernarg_size 24
		.amdhsa_user_sgpr_count 2
		.amdhsa_user_sgpr_dispatch_ptr 0
		.amdhsa_user_sgpr_queue_ptr 0
		.amdhsa_user_sgpr_kernarg_segment_ptr 1
		.amdhsa_user_sgpr_dispatch_id 0
		.amdhsa_user_sgpr_kernarg_preload_length 0
		.amdhsa_user_sgpr_kernarg_preload_offset 0
		.amdhsa_user_sgpr_private_segment_size 0
		.amdhsa_wavefront_size32 1
		.amdhsa_uses_dynamic_stack 0
		.amdhsa_enable_private_segment 0
		.amdhsa_system_sgpr_workgroup_id_x 1
		.amdhsa_system_sgpr_workgroup_id_y 0
		.amdhsa_system_sgpr_workgroup_id_z 0
		.amdhsa_system_sgpr_workgroup_info 0
		.amdhsa_system_vgpr_workitem_id 0
		.amdhsa_next_free_vgpr 11
		.amdhsa_next_free_sgpr 10
		.amdhsa_named_barrier_count 0
		.amdhsa_reserve_vcc 0
		.amdhsa_float_round_mode_32 0
		.amdhsa_float_round_mode_16_64 0
		.amdhsa_float_denorm_mode_32 3
		.amdhsa_float_denorm_mode_16_64 3
		.amdhsa_fp16_overflow 0
		.amdhsa_memory_ordered 1
		.amdhsa_forward_progress 1
		.amdhsa_inst_pref_size 3
		.amdhsa_round_robin_scheduling 0
		.amdhsa_exception_fp_ieee_invalid_op 0
		.amdhsa_exception_fp_denorm_src 0
		.amdhsa_exception_fp_ieee_div_zero 0
		.amdhsa_exception_fp_ieee_overflow 0
		.amdhsa_exception_fp_ieee_underflow 0
		.amdhsa_exception_fp_ieee_inexact 0
		.amdhsa_exception_int_div_zero 0
	.end_amdhsa_kernel
	.section	.text._Z6kernelI18scatter_to_blockedN15benchmark_utils11custom_typeIffEELj256ELj3ELj100EEvPKT0_PKjPS4_,"axG",@progbits,_Z6kernelI18scatter_to_blockedN15benchmark_utils11custom_typeIffEELj256ELj3ELj100EEvPKT0_PKjPS4_,comdat
.Lfunc_end140:
	.size	_Z6kernelI18scatter_to_blockedN15benchmark_utils11custom_typeIffEELj256ELj3ELj100EEvPKT0_PKjPS4_, .Lfunc_end140-_Z6kernelI18scatter_to_blockedN15benchmark_utils11custom_typeIffEELj256ELj3ELj100EEvPKT0_PKjPS4_
                                        ; -- End function
	.set _Z6kernelI18scatter_to_blockedN15benchmark_utils11custom_typeIffEELj256ELj3ELj100EEvPKT0_PKjPS4_.num_vgpr, 11
	.set _Z6kernelI18scatter_to_blockedN15benchmark_utils11custom_typeIffEELj256ELj3ELj100EEvPKT0_PKjPS4_.num_agpr, 0
	.set _Z6kernelI18scatter_to_blockedN15benchmark_utils11custom_typeIffEELj256ELj3ELj100EEvPKT0_PKjPS4_.numbered_sgpr, 10
	.set _Z6kernelI18scatter_to_blockedN15benchmark_utils11custom_typeIffEELj256ELj3ELj100EEvPKT0_PKjPS4_.num_named_barrier, 0
	.set _Z6kernelI18scatter_to_blockedN15benchmark_utils11custom_typeIffEELj256ELj3ELj100EEvPKT0_PKjPS4_.private_seg_size, 0
	.set _Z6kernelI18scatter_to_blockedN15benchmark_utils11custom_typeIffEELj256ELj3ELj100EEvPKT0_PKjPS4_.uses_vcc, 0
	.set _Z6kernelI18scatter_to_blockedN15benchmark_utils11custom_typeIffEELj256ELj3ELj100EEvPKT0_PKjPS4_.uses_flat_scratch, 0
	.set _Z6kernelI18scatter_to_blockedN15benchmark_utils11custom_typeIffEELj256ELj3ELj100EEvPKT0_PKjPS4_.has_dyn_sized_stack, 0
	.set _Z6kernelI18scatter_to_blockedN15benchmark_utils11custom_typeIffEELj256ELj3ELj100EEvPKT0_PKjPS4_.has_recursion, 0
	.set _Z6kernelI18scatter_to_blockedN15benchmark_utils11custom_typeIffEELj256ELj3ELj100EEvPKT0_PKjPS4_.has_indirect_call, 0
	.section	.AMDGPU.csdata,"",@progbits
; Kernel info:
; codeLenInByte = 332
; TotalNumSgprs: 10
; NumVgprs: 11
; ScratchSize: 0
; MemoryBound: 0
; FloatMode: 240
; IeeeMode: 1
; LDSByteSize: 6144 bytes/workgroup (compile time only)
; SGPRBlocks: 0
; VGPRBlocks: 0
; NumSGPRsForWavesPerEU: 10
; NumVGPRsForWavesPerEU: 11
; NamedBarCnt: 0
; Occupancy: 16
; WaveLimiterHint : 1
; COMPUTE_PGM_RSRC2:SCRATCH_EN: 0
; COMPUTE_PGM_RSRC2:USER_SGPR: 2
; COMPUTE_PGM_RSRC2:TRAP_HANDLER: 0
; COMPUTE_PGM_RSRC2:TGID_X_EN: 1
; COMPUTE_PGM_RSRC2:TGID_Y_EN: 0
; COMPUTE_PGM_RSRC2:TGID_Z_EN: 0
; COMPUTE_PGM_RSRC2:TIDIG_COMP_CNT: 0
	.section	.text._Z6kernelI18scatter_to_blockedN15benchmark_utils11custom_typeIffEELj256ELj4ELj100EEvPKT0_PKjPS4_,"axG",@progbits,_Z6kernelI18scatter_to_blockedN15benchmark_utils11custom_typeIffEELj256ELj4ELj100EEvPKT0_PKjPS4_,comdat
	.protected	_Z6kernelI18scatter_to_blockedN15benchmark_utils11custom_typeIffEELj256ELj4ELj100EEvPKT0_PKjPS4_ ; -- Begin function _Z6kernelI18scatter_to_blockedN15benchmark_utils11custom_typeIffEELj256ELj4ELj100EEvPKT0_PKjPS4_
	.globl	_Z6kernelI18scatter_to_blockedN15benchmark_utils11custom_typeIffEELj256ELj4ELj100EEvPKT0_PKjPS4_
	.p2align	8
	.type	_Z6kernelI18scatter_to_blockedN15benchmark_utils11custom_typeIffEELj256ELj4ELj100EEvPKT0_PKjPS4_,@function
_Z6kernelI18scatter_to_blockedN15benchmark_utils11custom_typeIffEELj256ELj4ELj100EEvPKT0_PKjPS4_: ; @_Z6kernelI18scatter_to_blockedN15benchmark_utils11custom_typeIffEELj256ELj4ELj100EEvPKT0_PKjPS4_
; %bb.0:
	s_load_b128 s[4:7], s[0:1], 0x0
	s_bfe_u32 s2, ttmp6, 0x4000c
	s_and_b32 s3, ttmp6, 15
	s_add_co_i32 s2, s2, 1
	s_getreg_b32 s8, hwreg(HW_REG_IB_STS2, 6, 4)
	s_mul_i32 s2, ttmp9, s2
	s_wait_xcnt 0x0
	s_load_b64 s[0:1], s[0:1], 0x10
	s_add_co_i32 s3, s3, s2
	s_cmp_eq_u32 s8, 0
	v_and_b32_e32 v18, 0xf8, v0
	s_cselect_b32 s2, ttmp9, s3
	s_mov_b32 s3, 0
	s_lshl_b32 s2, s2, 10
	v_lshlrev_b32_e32 v1, 2, v0
	s_lshl_b64 s[8:9], s[2:3], 2
	s_lshl_b64 s[2:3], s[2:3], 3
	s_wait_kmcnt 0x0
	s_add_nc_u64 s[6:7], s[6:7], s[8:9]
	s_add_nc_u64 s[4:5], s[4:5], s[2:3]
	s_clause 0x7
	global_load_b32 v10, v0, s[6:7] scale_offset
	global_load_b32 v11, v0, s[6:7] offset:1024 scale_offset
	global_load_b32 v12, v0, s[6:7] offset:2048 scale_offset
	;; [unrolled: 1-line block ×3, first 2 shown]
	global_load_b64 v[2:3], v0, s[4:5] scale_offset
	global_load_b64 v[4:5], v0, s[4:5] offset:2048 scale_offset
	global_load_b64 v[6:7], v0, s[4:5] offset:4096 scale_offset
	;; [unrolled: 1-line block ×3, first 2 shown]
	s_wait_xcnt 0x0
	v_lshl_add_u32 v0, v0, 5, v18
	s_movk_i32 s4, 0x64
	s_wait_loadcnt 0x6
	v_dual_lshrrev_b32 v14, 2, v10 :: v_dual_lshrrev_b32 v15, 2, v11
	s_wait_loadcnt 0x4
	v_dual_lshrrev_b32 v16, 2, v12 :: v_dual_lshrrev_b32 v17, 2, v13
	s_delay_alu instid0(VALU_DEP_2) | instskip(NEXT) | instid1(VALU_DEP_3)
	v_and_b32_e32 v14, 0x3ffffff8, v14
	v_and_b32_e32 v15, 0x3ffffff8, v15
	s_delay_alu instid0(VALU_DEP_3) | instskip(NEXT) | instid1(VALU_DEP_4)
	v_and_b32_e32 v16, 0x3ffffff8, v16
	v_and_b32_e32 v17, 0x3ffffff8, v17
	s_delay_alu instid0(VALU_DEP_4) | instskip(NEXT) | instid1(VALU_DEP_4)
	v_lshl_add_u32 v10, v10, 3, v14
	v_lshl_add_u32 v11, v11, 3, v15
	s_delay_alu instid0(VALU_DEP_4) | instskip(NEXT) | instid1(VALU_DEP_4)
	v_lshl_add_u32 v12, v12, 3, v16
	v_lshl_add_u32 v13, v13, 3, v17
.LBB141_1:                              ; =>This Inner Loop Header: Depth=1
	s_wait_loadcnt 0x3
	ds_store_b64 v10, v[2:3]
	s_wait_loadcnt 0x2
	ds_store_b64 v11, v[4:5]
	;; [unrolled: 2-line block ×4, first 2 shown]
	s_wait_dscnt 0x0
	s_barrier_signal -1
	s_barrier_wait -1
	ds_load_2addr_b64 v[2:5], v0 offset1:1
	ds_load_2addr_b64 v[6:9], v0 offset0:2 offset1:3
	s_add_co_i32 s4, s4, -1
	s_wait_dscnt 0x0
	s_cmp_lg_u32 s4, 0
	s_barrier_signal -1
	s_barrier_wait -1
	s_cbranch_scc1 .LBB141_1
; %bb.2:
	v_lshlrev_b32_e32 v0, 3, v1
	s_add_nc_u64 s[0:1], s[0:1], s[2:3]
	s_clause 0x1
	global_store_b128 v0, v[2:5], s[0:1]
	global_store_b128 v0, v[6:9], s[0:1] offset:16
	s_endpgm
	.section	.rodata,"a",@progbits
	.p2align	6, 0x0
	.amdhsa_kernel _Z6kernelI18scatter_to_blockedN15benchmark_utils11custom_typeIffEELj256ELj4ELj100EEvPKT0_PKjPS4_
		.amdhsa_group_segment_fixed_size 8448
		.amdhsa_private_segment_fixed_size 0
		.amdhsa_kernarg_size 24
		.amdhsa_user_sgpr_count 2
		.amdhsa_user_sgpr_dispatch_ptr 0
		.amdhsa_user_sgpr_queue_ptr 0
		.amdhsa_user_sgpr_kernarg_segment_ptr 1
		.amdhsa_user_sgpr_dispatch_id 0
		.amdhsa_user_sgpr_kernarg_preload_length 0
		.amdhsa_user_sgpr_kernarg_preload_offset 0
		.amdhsa_user_sgpr_private_segment_size 0
		.amdhsa_wavefront_size32 1
		.amdhsa_uses_dynamic_stack 0
		.amdhsa_enable_private_segment 0
		.amdhsa_system_sgpr_workgroup_id_x 1
		.amdhsa_system_sgpr_workgroup_id_y 0
		.amdhsa_system_sgpr_workgroup_id_z 0
		.amdhsa_system_sgpr_workgroup_info 0
		.amdhsa_system_vgpr_workitem_id 0
		.amdhsa_next_free_vgpr 19
		.amdhsa_next_free_sgpr 10
		.amdhsa_named_barrier_count 0
		.amdhsa_reserve_vcc 0
		.amdhsa_float_round_mode_32 0
		.amdhsa_float_round_mode_16_64 0
		.amdhsa_float_denorm_mode_32 3
		.amdhsa_float_denorm_mode_16_64 3
		.amdhsa_fp16_overflow 0
		.amdhsa_memory_ordered 1
		.amdhsa_forward_progress 1
		.amdhsa_inst_pref_size 4
		.amdhsa_round_robin_scheduling 0
		.amdhsa_exception_fp_ieee_invalid_op 0
		.amdhsa_exception_fp_denorm_src 0
		.amdhsa_exception_fp_ieee_div_zero 0
		.amdhsa_exception_fp_ieee_overflow 0
		.amdhsa_exception_fp_ieee_underflow 0
		.amdhsa_exception_fp_ieee_inexact 0
		.amdhsa_exception_int_div_zero 0
	.end_amdhsa_kernel
	.section	.text._Z6kernelI18scatter_to_blockedN15benchmark_utils11custom_typeIffEELj256ELj4ELj100EEvPKT0_PKjPS4_,"axG",@progbits,_Z6kernelI18scatter_to_blockedN15benchmark_utils11custom_typeIffEELj256ELj4ELj100EEvPKT0_PKjPS4_,comdat
.Lfunc_end141:
	.size	_Z6kernelI18scatter_to_blockedN15benchmark_utils11custom_typeIffEELj256ELj4ELj100EEvPKT0_PKjPS4_, .Lfunc_end141-_Z6kernelI18scatter_to_blockedN15benchmark_utils11custom_typeIffEELj256ELj4ELj100EEvPKT0_PKjPS4_
                                        ; -- End function
	.set _Z6kernelI18scatter_to_blockedN15benchmark_utils11custom_typeIffEELj256ELj4ELj100EEvPKT0_PKjPS4_.num_vgpr, 19
	.set _Z6kernelI18scatter_to_blockedN15benchmark_utils11custom_typeIffEELj256ELj4ELj100EEvPKT0_PKjPS4_.num_agpr, 0
	.set _Z6kernelI18scatter_to_blockedN15benchmark_utils11custom_typeIffEELj256ELj4ELj100EEvPKT0_PKjPS4_.numbered_sgpr, 10
	.set _Z6kernelI18scatter_to_blockedN15benchmark_utils11custom_typeIffEELj256ELj4ELj100EEvPKT0_PKjPS4_.num_named_barrier, 0
	.set _Z6kernelI18scatter_to_blockedN15benchmark_utils11custom_typeIffEELj256ELj4ELj100EEvPKT0_PKjPS4_.private_seg_size, 0
	.set _Z6kernelI18scatter_to_blockedN15benchmark_utils11custom_typeIffEELj256ELj4ELj100EEvPKT0_PKjPS4_.uses_vcc, 0
	.set _Z6kernelI18scatter_to_blockedN15benchmark_utils11custom_typeIffEELj256ELj4ELj100EEvPKT0_PKjPS4_.uses_flat_scratch, 0
	.set _Z6kernelI18scatter_to_blockedN15benchmark_utils11custom_typeIffEELj256ELj4ELj100EEvPKT0_PKjPS4_.has_dyn_sized_stack, 0
	.set _Z6kernelI18scatter_to_blockedN15benchmark_utils11custom_typeIffEELj256ELj4ELj100EEvPKT0_PKjPS4_.has_recursion, 0
	.set _Z6kernelI18scatter_to_blockedN15benchmark_utils11custom_typeIffEELj256ELj4ELj100EEvPKT0_PKjPS4_.has_indirect_call, 0
	.section	.AMDGPU.csdata,"",@progbits
; Kernel info:
; codeLenInByte = 464
; TotalNumSgprs: 10
; NumVgprs: 19
; ScratchSize: 0
; MemoryBound: 0
; FloatMode: 240
; IeeeMode: 1
; LDSByteSize: 8448 bytes/workgroup (compile time only)
; SGPRBlocks: 0
; VGPRBlocks: 1
; NumSGPRsForWavesPerEU: 10
; NumVGPRsForWavesPerEU: 19
; NamedBarCnt: 0
; Occupancy: 16
; WaveLimiterHint : 1
; COMPUTE_PGM_RSRC2:SCRATCH_EN: 0
; COMPUTE_PGM_RSRC2:USER_SGPR: 2
; COMPUTE_PGM_RSRC2:TRAP_HANDLER: 0
; COMPUTE_PGM_RSRC2:TGID_X_EN: 1
; COMPUTE_PGM_RSRC2:TGID_Y_EN: 0
; COMPUTE_PGM_RSRC2:TGID_Z_EN: 0
; COMPUTE_PGM_RSRC2:TIDIG_COMP_CNT: 0
	.section	.text._Z6kernelI18scatter_to_blockedN15benchmark_utils11custom_typeIffEELj256ELj7ELj100EEvPKT0_PKjPS4_,"axG",@progbits,_Z6kernelI18scatter_to_blockedN15benchmark_utils11custom_typeIffEELj256ELj7ELj100EEvPKT0_PKjPS4_,comdat
	.protected	_Z6kernelI18scatter_to_blockedN15benchmark_utils11custom_typeIffEELj256ELj7ELj100EEvPKT0_PKjPS4_ ; -- Begin function _Z6kernelI18scatter_to_blockedN15benchmark_utils11custom_typeIffEELj256ELj7ELj100EEvPKT0_PKjPS4_
	.globl	_Z6kernelI18scatter_to_blockedN15benchmark_utils11custom_typeIffEELj256ELj7ELj100EEvPKT0_PKjPS4_
	.p2align	8
	.type	_Z6kernelI18scatter_to_blockedN15benchmark_utils11custom_typeIffEELj256ELj7ELj100EEvPKT0_PKjPS4_,@function
_Z6kernelI18scatter_to_blockedN15benchmark_utils11custom_typeIffEELj256ELj7ELj100EEvPKT0_PKjPS4_: ; @_Z6kernelI18scatter_to_blockedN15benchmark_utils11custom_typeIffEELj256ELj7ELj100EEvPKT0_PKjPS4_
; %bb.0:
	s_load_b128 s[4:7], s[0:1], 0x0
	s_bfe_u32 s2, ttmp6, 0x4000c
	s_and_b32 s3, ttmp6, 15
	s_add_co_i32 s2, s2, 1
	s_getreg_b32 s8, hwreg(HW_REG_IB_STS2, 6, 4)
	s_mul_i32 s2, ttmp9, s2
	s_wait_xcnt 0x0
	s_load_b64 s[0:1], s[0:1], 0x10
	s_add_co_i32 s3, s3, s2
	s_cmp_eq_u32 s8, 0
	s_cselect_b32 s2, ttmp9, s3
	s_mov_b32 s3, 0
	s_mulk_i32 s2, 0x700
	s_delay_alu instid0(SALU_CYCLE_1)
	s_lshl_b64 s[8:9], s[2:3], 2
	s_lshl_b64 s[2:3], s[2:3], 3
	s_wait_kmcnt 0x0
	s_add_nc_u64 s[6:7], s[6:7], s[8:9]
	s_add_nc_u64 s[4:5], s[4:5], s[2:3]
	s_clause 0xd
	global_load_b32 v1, v0, s[6:7] scale_offset
	global_load_b32 v17, v0, s[6:7] offset:1024 scale_offset
	global_load_b32 v18, v0, s[6:7] offset:2048 scale_offset
	;; [unrolled: 1-line block ×6, first 2 shown]
	global_load_b64 v[6:7], v0, s[4:5] offset:8192 scale_offset
	global_load_b64 v[8:9], v0, s[4:5] offset:10240 scale_offset
	;; [unrolled: 1-line block ×3, first 2 shown]
	global_load_b64 v[2:3], v0, s[4:5] scale_offset
	global_load_b64 v[4:5], v0, s[4:5] offset:2048 scale_offset
	global_load_b64 v[10:11], v0, s[4:5] offset:4096 scale_offset
	;; [unrolled: 1-line block ×3, first 2 shown]
	s_wait_xcnt 0x0
	v_mul_u32_u24_e32 v0, 7, v0
	s_movk_i32 s4, 0x64
	s_wait_loadcnt 0xd
	v_lshlrev_b32_e32 v16, 3, v1
	s_wait_loadcnt 0xb
	v_dual_lshlrev_b32 v17, 3, v17 :: v_dual_lshlrev_b32 v18, 3, v18
	s_wait_loadcnt 0x9
	v_dual_lshlrev_b32 v19, 3, v19 :: v_dual_lshlrev_b32 v20, 3, v20
	;; [unrolled: 2-line block ×3, first 2 shown]
	v_lshlrev_b32_e32 v1, 3, v0
.LBB142_1:                              ; =>This Inner Loop Header: Depth=1
	s_wait_loadcnt 0x3
	ds_store_b64 v16, v[2:3]
	s_wait_loadcnt 0x2
	ds_store_b64 v17, v[4:5]
	;; [unrolled: 2-line block ×4, first 2 shown]
	ds_store_b64 v20, v[6:7]
	ds_store_b64 v21, v[8:9]
	;; [unrolled: 1-line block ×3, first 2 shown]
	s_wait_dscnt 0x0
	s_barrier_signal -1
	s_barrier_wait -1
	ds_load_2addr_b64 v[2:5], v1 offset1:1
	ds_load_2addr_b64 v[10:13], v1 offset0:2 offset1:3
	ds_load_2addr_b64 v[6:9], v1 offset0:4 offset1:5
	ds_load_b64 v[14:15], v1 offset:48
	s_add_co_i32 s4, s4, -1
	s_wait_dscnt 0x0
	s_cmp_lg_u32 s4, 0
	s_barrier_signal -1
	s_barrier_wait -1
	s_cbranch_scc1 .LBB142_1
; %bb.2:
	s_add_nc_u64 s[0:1], s[0:1], s[2:3]
	s_clause 0x3
	global_store_b128 v1, v[10:13], s[0:1] offset:16
	global_store_b128 v1, v[6:9], s[0:1] offset:32
	global_store_b128 v1, v[2:5], s[0:1]
	global_store_b64 v0, v[14:15], s[0:1] offset:48 scale_offset
	s_endpgm
	.section	.rodata,"a",@progbits
	.p2align	6, 0x0
	.amdhsa_kernel _Z6kernelI18scatter_to_blockedN15benchmark_utils11custom_typeIffEELj256ELj7ELj100EEvPKT0_PKjPS4_
		.amdhsa_group_segment_fixed_size 14336
		.amdhsa_private_segment_fixed_size 0
		.amdhsa_kernarg_size 24
		.amdhsa_user_sgpr_count 2
		.amdhsa_user_sgpr_dispatch_ptr 0
		.amdhsa_user_sgpr_queue_ptr 0
		.amdhsa_user_sgpr_kernarg_segment_ptr 1
		.amdhsa_user_sgpr_dispatch_id 0
		.amdhsa_user_sgpr_kernarg_preload_length 0
		.amdhsa_user_sgpr_kernarg_preload_offset 0
		.amdhsa_user_sgpr_private_segment_size 0
		.amdhsa_wavefront_size32 1
		.amdhsa_uses_dynamic_stack 0
		.amdhsa_enable_private_segment 0
		.amdhsa_system_sgpr_workgroup_id_x 1
		.amdhsa_system_sgpr_workgroup_id_y 0
		.amdhsa_system_sgpr_workgroup_id_z 0
		.amdhsa_system_sgpr_workgroup_info 0
		.amdhsa_system_vgpr_workitem_id 0
		.amdhsa_next_free_vgpr 23
		.amdhsa_next_free_sgpr 10
		.amdhsa_named_barrier_count 0
		.amdhsa_reserve_vcc 0
		.amdhsa_float_round_mode_32 0
		.amdhsa_float_round_mode_16_64 0
		.amdhsa_float_denorm_mode_32 3
		.amdhsa_float_denorm_mode_16_64 3
		.amdhsa_fp16_overflow 0
		.amdhsa_memory_ordered 1
		.amdhsa_forward_progress 1
		.amdhsa_inst_pref_size 5
		.amdhsa_round_robin_scheduling 0
		.amdhsa_exception_fp_ieee_invalid_op 0
		.amdhsa_exception_fp_denorm_src 0
		.amdhsa_exception_fp_ieee_div_zero 0
		.amdhsa_exception_fp_ieee_overflow 0
		.amdhsa_exception_fp_ieee_underflow 0
		.amdhsa_exception_fp_ieee_inexact 0
		.amdhsa_exception_int_div_zero 0
	.end_amdhsa_kernel
	.section	.text._Z6kernelI18scatter_to_blockedN15benchmark_utils11custom_typeIffEELj256ELj7ELj100EEvPKT0_PKjPS4_,"axG",@progbits,_Z6kernelI18scatter_to_blockedN15benchmark_utils11custom_typeIffEELj256ELj7ELj100EEvPKT0_PKjPS4_,comdat
.Lfunc_end142:
	.size	_Z6kernelI18scatter_to_blockedN15benchmark_utils11custom_typeIffEELj256ELj7ELj100EEvPKT0_PKjPS4_, .Lfunc_end142-_Z6kernelI18scatter_to_blockedN15benchmark_utils11custom_typeIffEELj256ELj7ELj100EEvPKT0_PKjPS4_
                                        ; -- End function
	.set _Z6kernelI18scatter_to_blockedN15benchmark_utils11custom_typeIffEELj256ELj7ELj100EEvPKT0_PKjPS4_.num_vgpr, 23
	.set _Z6kernelI18scatter_to_blockedN15benchmark_utils11custom_typeIffEELj256ELj7ELj100EEvPKT0_PKjPS4_.num_agpr, 0
	.set _Z6kernelI18scatter_to_blockedN15benchmark_utils11custom_typeIffEELj256ELj7ELj100EEvPKT0_PKjPS4_.numbered_sgpr, 10
	.set _Z6kernelI18scatter_to_blockedN15benchmark_utils11custom_typeIffEELj256ELj7ELj100EEvPKT0_PKjPS4_.num_named_barrier, 0
	.set _Z6kernelI18scatter_to_blockedN15benchmark_utils11custom_typeIffEELj256ELj7ELj100EEvPKT0_PKjPS4_.private_seg_size, 0
	.set _Z6kernelI18scatter_to_blockedN15benchmark_utils11custom_typeIffEELj256ELj7ELj100EEvPKT0_PKjPS4_.uses_vcc, 0
	.set _Z6kernelI18scatter_to_blockedN15benchmark_utils11custom_typeIffEELj256ELj7ELj100EEvPKT0_PKjPS4_.uses_flat_scratch, 0
	.set _Z6kernelI18scatter_to_blockedN15benchmark_utils11custom_typeIffEELj256ELj7ELj100EEvPKT0_PKjPS4_.has_dyn_sized_stack, 0
	.set _Z6kernelI18scatter_to_blockedN15benchmark_utils11custom_typeIffEELj256ELj7ELj100EEvPKT0_PKjPS4_.has_recursion, 0
	.set _Z6kernelI18scatter_to_blockedN15benchmark_utils11custom_typeIffEELj256ELj7ELj100EEvPKT0_PKjPS4_.has_indirect_call, 0
	.section	.AMDGPU.csdata,"",@progbits
; Kernel info:
; codeLenInByte = 532
; TotalNumSgprs: 10
; NumVgprs: 23
; ScratchSize: 0
; MemoryBound: 0
; FloatMode: 240
; IeeeMode: 1
; LDSByteSize: 14336 bytes/workgroup (compile time only)
; SGPRBlocks: 0
; VGPRBlocks: 1
; NumSGPRsForWavesPerEU: 10
; NumVGPRsForWavesPerEU: 23
; NamedBarCnt: 0
; Occupancy: 16
; WaveLimiterHint : 1
; COMPUTE_PGM_RSRC2:SCRATCH_EN: 0
; COMPUTE_PGM_RSRC2:USER_SGPR: 2
; COMPUTE_PGM_RSRC2:TRAP_HANDLER: 0
; COMPUTE_PGM_RSRC2:TGID_X_EN: 1
; COMPUTE_PGM_RSRC2:TGID_Y_EN: 0
; COMPUTE_PGM_RSRC2:TGID_Z_EN: 0
; COMPUTE_PGM_RSRC2:TIDIG_COMP_CNT: 0
	.section	.text._Z6kernelI18scatter_to_blockedN15benchmark_utils11custom_typeIffEELj256ELj8ELj100EEvPKT0_PKjPS4_,"axG",@progbits,_Z6kernelI18scatter_to_blockedN15benchmark_utils11custom_typeIffEELj256ELj8ELj100EEvPKT0_PKjPS4_,comdat
	.protected	_Z6kernelI18scatter_to_blockedN15benchmark_utils11custom_typeIffEELj256ELj8ELj100EEvPKT0_PKjPS4_ ; -- Begin function _Z6kernelI18scatter_to_blockedN15benchmark_utils11custom_typeIffEELj256ELj8ELj100EEvPKT0_PKjPS4_
	.globl	_Z6kernelI18scatter_to_blockedN15benchmark_utils11custom_typeIffEELj256ELj8ELj100EEvPKT0_PKjPS4_
	.p2align	8
	.type	_Z6kernelI18scatter_to_blockedN15benchmark_utils11custom_typeIffEELj256ELj8ELj100EEvPKT0_PKjPS4_,@function
_Z6kernelI18scatter_to_blockedN15benchmark_utils11custom_typeIffEELj256ELj8ELj100EEvPKT0_PKjPS4_: ; @_Z6kernelI18scatter_to_blockedN15benchmark_utils11custom_typeIffEELj256ELj8ELj100EEvPKT0_PKjPS4_
; %bb.0:
	s_load_b128 s[4:7], s[0:1], 0x0
	s_bfe_u32 s2, ttmp6, 0x4000c
	s_and_b32 s3, ttmp6, 15
	s_add_co_i32 s2, s2, 1
	s_getreg_b32 s8, hwreg(HW_REG_IB_STS2, 6, 4)
	s_mul_i32 s2, ttmp9, s2
	s_wait_xcnt 0x0
	s_load_b64 s[0:1], s[0:1], 0x10
	s_add_co_i32 s3, s3, s2
	s_cmp_eq_u32 s8, 0
	v_dual_lshlrev_b32 v26, 1, v0 :: v_dual_lshlrev_b32 v1, 3, v0
	s_cselect_b32 s2, ttmp9, s3
	s_mov_b32 s3, 0
	s_lshl_b32 s2, s2, 11
	s_delay_alu instid0(VALU_DEP_1)
	v_and_b32_e32 v26, 0x1f8, v26
	s_lshl_b64 s[8:9], s[2:3], 2
	s_lshl_b64 s[2:3], s[2:3], 3
	s_wait_kmcnt 0x0
	s_add_nc_u64 s[6:7], s[6:7], s[8:9]
	s_add_nc_u64 s[4:5], s[4:5], s[2:3]
	s_clause 0xf
	global_load_b32 v18, v0, s[6:7] scale_offset
	global_load_b32 v19, v0, s[6:7] offset:1024 scale_offset
	global_load_b32 v20, v0, s[6:7] offset:2048 scale_offset
	;; [unrolled: 1-line block ×7, first 2 shown]
	global_load_b64 v[2:3], v0, s[4:5] scale_offset
	global_load_b64 v[4:5], v0, s[4:5] offset:2048 scale_offset
	global_load_b64 v[6:7], v0, s[4:5] offset:4096 scale_offset
	;; [unrolled: 1-line block ×7, first 2 shown]
	s_wait_xcnt 0x0
	v_lshl_add_u32 v0, v0, 6, v26
	s_movk_i32 s4, 0x64
	s_wait_loadcnt 0xe
	v_dual_lshrrev_b32 v27, 2, v18 :: v_dual_lshrrev_b32 v28, 2, v19
	s_wait_loadcnt 0xc
	v_dual_lshrrev_b32 v29, 2, v20 :: v_dual_lshrrev_b32 v30, 2, v21
	;; [unrolled: 2-line block ×4, first 2 shown]
	v_and_b32_e32 v27, 0x3ffffff8, v27
	v_and_b32_e32 v28, 0x3ffffff8, v28
	;; [unrolled: 1-line block ×8, first 2 shown]
	v_lshl_add_u32 v18, v18, 3, v27
	v_lshl_add_u32 v19, v19, 3, v28
	;; [unrolled: 1-line block ×8, first 2 shown]
.LBB143_1:                              ; =>This Inner Loop Header: Depth=1
	s_wait_loadcnt 0x7
	ds_store_b64 v18, v[2:3]
	s_wait_loadcnt 0x6
	ds_store_b64 v19, v[4:5]
	;; [unrolled: 2-line block ×8, first 2 shown]
	s_wait_dscnt 0x0
	s_barrier_signal -1
	s_barrier_wait -1
	ds_load_2addr_b64 v[2:5], v0 offset1:1
	ds_load_2addr_b64 v[6:9], v0 offset0:2 offset1:3
	ds_load_2addr_b64 v[10:13], v0 offset0:4 offset1:5
	;; [unrolled: 1-line block ×3, first 2 shown]
	s_add_co_i32 s4, s4, -1
	s_wait_dscnt 0x0
	s_cmp_lg_u32 s4, 0
	s_barrier_signal -1
	s_barrier_wait -1
	s_cbranch_scc1 .LBB143_1
; %bb.2:
	v_lshlrev_b32_e32 v0, 3, v1
	s_add_nc_u64 s[0:1], s[0:1], s[2:3]
	s_clause 0x3
	global_store_b128 v0, v[2:5], s[0:1]
	global_store_b128 v0, v[6:9], s[0:1] offset:16
	global_store_b128 v0, v[10:13], s[0:1] offset:32
	;; [unrolled: 1-line block ×3, first 2 shown]
	s_endpgm
	.section	.rodata,"a",@progbits
	.p2align	6, 0x0
	.amdhsa_kernel _Z6kernelI18scatter_to_blockedN15benchmark_utils11custom_typeIffEELj256ELj8ELj100EEvPKT0_PKjPS4_
		.amdhsa_group_segment_fixed_size 16896
		.amdhsa_private_segment_fixed_size 0
		.amdhsa_kernarg_size 24
		.amdhsa_user_sgpr_count 2
		.amdhsa_user_sgpr_dispatch_ptr 0
		.amdhsa_user_sgpr_queue_ptr 0
		.amdhsa_user_sgpr_kernarg_segment_ptr 1
		.amdhsa_user_sgpr_dispatch_id 0
		.amdhsa_user_sgpr_kernarg_preload_length 0
		.amdhsa_user_sgpr_kernarg_preload_offset 0
		.amdhsa_user_sgpr_private_segment_size 0
		.amdhsa_wavefront_size32 1
		.amdhsa_uses_dynamic_stack 0
		.amdhsa_enable_private_segment 0
		.amdhsa_system_sgpr_workgroup_id_x 1
		.amdhsa_system_sgpr_workgroup_id_y 0
		.amdhsa_system_sgpr_workgroup_id_z 0
		.amdhsa_system_sgpr_workgroup_info 0
		.amdhsa_system_vgpr_workitem_id 0
		.amdhsa_next_free_vgpr 35
		.amdhsa_next_free_sgpr 10
		.amdhsa_named_barrier_count 0
		.amdhsa_reserve_vcc 0
		.amdhsa_float_round_mode_32 0
		.amdhsa_float_round_mode_16_64 0
		.amdhsa_float_denorm_mode_32 3
		.amdhsa_float_denorm_mode_16_64 3
		.amdhsa_fp16_overflow 0
		.amdhsa_memory_ordered 1
		.amdhsa_forward_progress 1
		.amdhsa_inst_pref_size 6
		.amdhsa_round_robin_scheduling 0
		.amdhsa_exception_fp_ieee_invalid_op 0
		.amdhsa_exception_fp_denorm_src 0
		.amdhsa_exception_fp_ieee_div_zero 0
		.amdhsa_exception_fp_ieee_overflow 0
		.amdhsa_exception_fp_ieee_underflow 0
		.amdhsa_exception_fp_ieee_inexact 0
		.amdhsa_exception_int_div_zero 0
	.end_amdhsa_kernel
	.section	.text._Z6kernelI18scatter_to_blockedN15benchmark_utils11custom_typeIffEELj256ELj8ELj100EEvPKT0_PKjPS4_,"axG",@progbits,_Z6kernelI18scatter_to_blockedN15benchmark_utils11custom_typeIffEELj256ELj8ELj100EEvPKT0_PKjPS4_,comdat
.Lfunc_end143:
	.size	_Z6kernelI18scatter_to_blockedN15benchmark_utils11custom_typeIffEELj256ELj8ELj100EEvPKT0_PKjPS4_, .Lfunc_end143-_Z6kernelI18scatter_to_blockedN15benchmark_utils11custom_typeIffEELj256ELj8ELj100EEvPKT0_PKjPS4_
                                        ; -- End function
	.set _Z6kernelI18scatter_to_blockedN15benchmark_utils11custom_typeIffEELj256ELj8ELj100EEvPKT0_PKjPS4_.num_vgpr, 35
	.set _Z6kernelI18scatter_to_blockedN15benchmark_utils11custom_typeIffEELj256ELj8ELj100EEvPKT0_PKjPS4_.num_agpr, 0
	.set _Z6kernelI18scatter_to_blockedN15benchmark_utils11custom_typeIffEELj256ELj8ELj100EEvPKT0_PKjPS4_.numbered_sgpr, 10
	.set _Z6kernelI18scatter_to_blockedN15benchmark_utils11custom_typeIffEELj256ELj8ELj100EEvPKT0_PKjPS4_.num_named_barrier, 0
	.set _Z6kernelI18scatter_to_blockedN15benchmark_utils11custom_typeIffEELj256ELj8ELj100EEvPKT0_PKjPS4_.private_seg_size, 0
	.set _Z6kernelI18scatter_to_blockedN15benchmark_utils11custom_typeIffEELj256ELj8ELj100EEvPKT0_PKjPS4_.uses_vcc, 0
	.set _Z6kernelI18scatter_to_blockedN15benchmark_utils11custom_typeIffEELj256ELj8ELj100EEvPKT0_PKjPS4_.uses_flat_scratch, 0
	.set _Z6kernelI18scatter_to_blockedN15benchmark_utils11custom_typeIffEELj256ELj8ELj100EEvPKT0_PKjPS4_.has_dyn_sized_stack, 0
	.set _Z6kernelI18scatter_to_blockedN15benchmark_utils11custom_typeIffEELj256ELj8ELj100EEvPKT0_PKjPS4_.has_recursion, 0
	.set _Z6kernelI18scatter_to_blockedN15benchmark_utils11custom_typeIffEELj256ELj8ELj100EEvPKT0_PKjPS4_.has_indirect_call, 0
	.section	.AMDGPU.csdata,"",@progbits
; Kernel info:
; codeLenInByte = 740
; TotalNumSgprs: 10
; NumVgprs: 35
; ScratchSize: 0
; MemoryBound: 0
; FloatMode: 240
; IeeeMode: 1
; LDSByteSize: 16896 bytes/workgroup (compile time only)
; SGPRBlocks: 0
; VGPRBlocks: 2
; NumSGPRsForWavesPerEU: 10
; NumVGPRsForWavesPerEU: 35
; NamedBarCnt: 0
; Occupancy: 16
; WaveLimiterHint : 1
; COMPUTE_PGM_RSRC2:SCRATCH_EN: 0
; COMPUTE_PGM_RSRC2:USER_SGPR: 2
; COMPUTE_PGM_RSRC2:TRAP_HANDLER: 0
; COMPUTE_PGM_RSRC2:TGID_X_EN: 1
; COMPUTE_PGM_RSRC2:TGID_Y_EN: 0
; COMPUTE_PGM_RSRC2:TGID_Z_EN: 0
; COMPUTE_PGM_RSRC2:TIDIG_COMP_CNT: 0
	.section	.text._Z6kernelI18scatter_to_blockedN15benchmark_utils11custom_typeIddEELj256ELj1ELj100EEvPKT0_PKjPS4_,"axG",@progbits,_Z6kernelI18scatter_to_blockedN15benchmark_utils11custom_typeIddEELj256ELj1ELj100EEvPKT0_PKjPS4_,comdat
	.protected	_Z6kernelI18scatter_to_blockedN15benchmark_utils11custom_typeIddEELj256ELj1ELj100EEvPKT0_PKjPS4_ ; -- Begin function _Z6kernelI18scatter_to_blockedN15benchmark_utils11custom_typeIddEELj256ELj1ELj100EEvPKT0_PKjPS4_
	.globl	_Z6kernelI18scatter_to_blockedN15benchmark_utils11custom_typeIddEELj256ELj1ELj100EEvPKT0_PKjPS4_
	.p2align	8
	.type	_Z6kernelI18scatter_to_blockedN15benchmark_utils11custom_typeIddEELj256ELj1ELj100EEvPKT0_PKjPS4_,@function
_Z6kernelI18scatter_to_blockedN15benchmark_utils11custom_typeIddEELj256ELj1ELj100EEvPKT0_PKjPS4_: ; @_Z6kernelI18scatter_to_blockedN15benchmark_utils11custom_typeIddEELj256ELj1ELj100EEvPKT0_PKjPS4_
; %bb.0:
	s_load_b128 s[4:7], s[0:1], 0x0
	s_bfe_u32 s2, ttmp6, 0x4000c
	s_and_b32 s3, ttmp6, 15
	s_add_co_i32 s2, s2, 1
	s_getreg_b32 s8, hwreg(HW_REG_IB_STS2, 6, 4)
	s_mul_i32 s2, ttmp9, s2
	s_wait_xcnt 0x0
	s_load_b64 s[0:1], s[0:1], 0x10
	s_add_co_i32 s3, s3, s2
	s_cmp_eq_u32 s8, 0
	v_lshlrev_b32_e32 v6, 4, v0
	s_cselect_b32 s2, ttmp9, s3
	s_mov_b32 s3, 0
	s_lshl_b32 s2, s2, 8
	s_delay_alu instid0(SALU_CYCLE_1)
	s_lshl_b64 s[8:9], s[2:3], 2
	s_lshl_b64 s[2:3], s[2:3], 4
	s_wait_kmcnt 0x0
	s_add_nc_u64 s[6:7], s[6:7], s[8:9]
	s_add_nc_u64 s[4:5], s[4:5], s[2:3]
	s_clause 0x1
	global_load_b32 v1, v0, s[6:7] scale_offset
	global_load_b128 v[2:5], v0, s[4:5] scale_offset
	s_wait_xcnt 0x0
	s_movk_i32 s4, 0x64
	s_wait_loadcnt 0x1
	v_lshlrev_b32_e32 v1, 4, v1
.LBB144_1:                              ; =>This Inner Loop Header: Depth=1
	s_wait_loadcnt 0x0
	ds_store_b128 v1, v[2:5]
	s_wait_dscnt 0x0
	s_barrier_signal -1
	s_barrier_wait -1
	ds_load_b128 v[2:5], v6
	s_add_co_i32 s4, s4, -1
	s_wait_dscnt 0x0
	s_cmp_lg_u32 s4, 0
	s_barrier_signal -1
	s_barrier_wait -1
	s_cbranch_scc1 .LBB144_1
; %bb.2:
	s_add_nc_u64 s[0:1], s[0:1], s[2:3]
	global_store_b128 v0, v[2:5], s[0:1] scale_offset
	s_endpgm
	.section	.rodata,"a",@progbits
	.p2align	6, 0x0
	.amdhsa_kernel _Z6kernelI18scatter_to_blockedN15benchmark_utils11custom_typeIddEELj256ELj1ELj100EEvPKT0_PKjPS4_
		.amdhsa_group_segment_fixed_size 4096
		.amdhsa_private_segment_fixed_size 0
		.amdhsa_kernarg_size 24
		.amdhsa_user_sgpr_count 2
		.amdhsa_user_sgpr_dispatch_ptr 0
		.amdhsa_user_sgpr_queue_ptr 0
		.amdhsa_user_sgpr_kernarg_segment_ptr 1
		.amdhsa_user_sgpr_dispatch_id 0
		.amdhsa_user_sgpr_kernarg_preload_length 0
		.amdhsa_user_sgpr_kernarg_preload_offset 0
		.amdhsa_user_sgpr_private_segment_size 0
		.amdhsa_wavefront_size32 1
		.amdhsa_uses_dynamic_stack 0
		.amdhsa_enable_private_segment 0
		.amdhsa_system_sgpr_workgroup_id_x 1
		.amdhsa_system_sgpr_workgroup_id_y 0
		.amdhsa_system_sgpr_workgroup_id_z 0
		.amdhsa_system_sgpr_workgroup_info 0
		.amdhsa_system_vgpr_workitem_id 0
		.amdhsa_next_free_vgpr 7
		.amdhsa_next_free_sgpr 10
		.amdhsa_named_barrier_count 0
		.amdhsa_reserve_vcc 0
		.amdhsa_float_round_mode_32 0
		.amdhsa_float_round_mode_16_64 0
		.amdhsa_float_denorm_mode_32 3
		.amdhsa_float_denorm_mode_16_64 3
		.amdhsa_fp16_overflow 0
		.amdhsa_memory_ordered 1
		.amdhsa_forward_progress 1
		.amdhsa_inst_pref_size 2
		.amdhsa_round_robin_scheduling 0
		.amdhsa_exception_fp_ieee_invalid_op 0
		.amdhsa_exception_fp_denorm_src 0
		.amdhsa_exception_fp_ieee_div_zero 0
		.amdhsa_exception_fp_ieee_overflow 0
		.amdhsa_exception_fp_ieee_underflow 0
		.amdhsa_exception_fp_ieee_inexact 0
		.amdhsa_exception_int_div_zero 0
	.end_amdhsa_kernel
	.section	.text._Z6kernelI18scatter_to_blockedN15benchmark_utils11custom_typeIddEELj256ELj1ELj100EEvPKT0_PKjPS4_,"axG",@progbits,_Z6kernelI18scatter_to_blockedN15benchmark_utils11custom_typeIddEELj256ELj1ELj100EEvPKT0_PKjPS4_,comdat
.Lfunc_end144:
	.size	_Z6kernelI18scatter_to_blockedN15benchmark_utils11custom_typeIddEELj256ELj1ELj100EEvPKT0_PKjPS4_, .Lfunc_end144-_Z6kernelI18scatter_to_blockedN15benchmark_utils11custom_typeIddEELj256ELj1ELj100EEvPKT0_PKjPS4_
                                        ; -- End function
	.set _Z6kernelI18scatter_to_blockedN15benchmark_utils11custom_typeIddEELj256ELj1ELj100EEvPKT0_PKjPS4_.num_vgpr, 7
	.set _Z6kernelI18scatter_to_blockedN15benchmark_utils11custom_typeIddEELj256ELj1ELj100EEvPKT0_PKjPS4_.num_agpr, 0
	.set _Z6kernelI18scatter_to_blockedN15benchmark_utils11custom_typeIddEELj256ELj1ELj100EEvPKT0_PKjPS4_.numbered_sgpr, 10
	.set _Z6kernelI18scatter_to_blockedN15benchmark_utils11custom_typeIddEELj256ELj1ELj100EEvPKT0_PKjPS4_.num_named_barrier, 0
	.set _Z6kernelI18scatter_to_blockedN15benchmark_utils11custom_typeIddEELj256ELj1ELj100EEvPKT0_PKjPS4_.private_seg_size, 0
	.set _Z6kernelI18scatter_to_blockedN15benchmark_utils11custom_typeIddEELj256ELj1ELj100EEvPKT0_PKjPS4_.uses_vcc, 0
	.set _Z6kernelI18scatter_to_blockedN15benchmark_utils11custom_typeIddEELj256ELj1ELj100EEvPKT0_PKjPS4_.uses_flat_scratch, 0
	.set _Z6kernelI18scatter_to_blockedN15benchmark_utils11custom_typeIddEELj256ELj1ELj100EEvPKT0_PKjPS4_.has_dyn_sized_stack, 0
	.set _Z6kernelI18scatter_to_blockedN15benchmark_utils11custom_typeIddEELj256ELj1ELj100EEvPKT0_PKjPS4_.has_recursion, 0
	.set _Z6kernelI18scatter_to_blockedN15benchmark_utils11custom_typeIddEELj256ELj1ELj100EEvPKT0_PKjPS4_.has_indirect_call, 0
	.section	.AMDGPU.csdata,"",@progbits
; Kernel info:
; codeLenInByte = 212
; TotalNumSgprs: 10
; NumVgprs: 7
; ScratchSize: 0
; MemoryBound: 0
; FloatMode: 240
; IeeeMode: 1
; LDSByteSize: 4096 bytes/workgroup (compile time only)
; SGPRBlocks: 0
; VGPRBlocks: 0
; NumSGPRsForWavesPerEU: 10
; NumVGPRsForWavesPerEU: 7
; NamedBarCnt: 0
; Occupancy: 16
; WaveLimiterHint : 0
; COMPUTE_PGM_RSRC2:SCRATCH_EN: 0
; COMPUTE_PGM_RSRC2:USER_SGPR: 2
; COMPUTE_PGM_RSRC2:TRAP_HANDLER: 0
; COMPUTE_PGM_RSRC2:TGID_X_EN: 1
; COMPUTE_PGM_RSRC2:TGID_Y_EN: 0
; COMPUTE_PGM_RSRC2:TGID_Z_EN: 0
; COMPUTE_PGM_RSRC2:TIDIG_COMP_CNT: 0
	.section	.text._Z6kernelI18scatter_to_blockedN15benchmark_utils11custom_typeIddEELj256ELj2ELj100EEvPKT0_PKjPS4_,"axG",@progbits,_Z6kernelI18scatter_to_blockedN15benchmark_utils11custom_typeIddEELj256ELj2ELj100EEvPKT0_PKjPS4_,comdat
	.protected	_Z6kernelI18scatter_to_blockedN15benchmark_utils11custom_typeIddEELj256ELj2ELj100EEvPKT0_PKjPS4_ ; -- Begin function _Z6kernelI18scatter_to_blockedN15benchmark_utils11custom_typeIddEELj256ELj2ELj100EEvPKT0_PKjPS4_
	.globl	_Z6kernelI18scatter_to_blockedN15benchmark_utils11custom_typeIddEELj256ELj2ELj100EEvPKT0_PKjPS4_
	.p2align	8
	.type	_Z6kernelI18scatter_to_blockedN15benchmark_utils11custom_typeIddEELj256ELj2ELj100EEvPKT0_PKjPS4_,@function
_Z6kernelI18scatter_to_blockedN15benchmark_utils11custom_typeIddEELj256ELj2ELj100EEvPKT0_PKjPS4_: ; @_Z6kernelI18scatter_to_blockedN15benchmark_utils11custom_typeIddEELj256ELj2ELj100EEvPKT0_PKjPS4_
; %bb.0:
	s_load_b128 s[4:7], s[0:1], 0x0
	s_bfe_u32 s2, ttmp6, 0x4000c
	s_and_b32 s3, ttmp6, 15
	s_add_co_i32 s2, s2, 1
	s_getreg_b32 s8, hwreg(HW_REG_IB_STS2, 6, 4)
	s_mul_i32 s2, ttmp9, s2
	s_wait_xcnt 0x0
	s_load_b64 s[0:1], s[0:1], 0x10
	s_add_co_i32 s3, s3, s2
	s_cmp_eq_u32 s8, 0
	v_and_b32_e32 v14, 0xf0, v0
	s_cselect_b32 s2, ttmp9, s3
	s_mov_b32 s3, 0
	s_lshl_b32 s2, s2, 9
	s_delay_alu instid0(SALU_CYCLE_1)
	s_lshl_b64 s[8:9], s[2:3], 2
	s_lshl_b64 s[2:3], s[2:3], 4
	s_wait_kmcnt 0x0
	s_add_nc_u64 s[6:7], s[6:7], s[8:9]
	s_add_nc_u64 s[4:5], s[4:5], s[2:3]
	s_clause 0x3
	global_load_b32 v10, v0, s[6:7] scale_offset
	global_load_b32 v11, v0, s[6:7] offset:1024 scale_offset
	global_load_b128 v[6:9], v0, s[4:5] scale_offset
	global_load_b128 v[2:5], v0, s[4:5] offset:4096 scale_offset
	s_wait_xcnt 0x0
	s_movk_i32 s4, 0x64
	s_wait_loadcnt 0x2
	v_dual_lshrrev_b32 v1, 1, v10 :: v_dual_lshrrev_b32 v12, 1, v11
	s_delay_alu instid0(VALU_DEP_1) | instskip(NEXT) | instid1(VALU_DEP_2)
	v_and_b32_e32 v13, 0x7ffffff0, v1
	v_and_b32_e32 v12, 0x7ffffff0, v12
	v_lshlrev_b32_e32 v1, 1, v0
	v_lshl_add_u32 v0, v0, 5, v14
	s_delay_alu instid0(VALU_DEP_4) | instskip(NEXT) | instid1(VALU_DEP_4)
	v_lshl_add_u32 v10, v10, 4, v13
	v_lshl_add_u32 v11, v11, 4, v12
.LBB145_1:                              ; =>This Inner Loop Header: Depth=1
	s_wait_loadcnt 0x1
	ds_store_b128 v10, v[6:9]
	s_wait_loadcnt 0x0
	ds_store_b128 v11, v[2:5]
	s_wait_dscnt 0x0
	s_barrier_signal -1
	s_barrier_wait -1
	ds_load_b128 v[6:9], v0
	ds_load_b128 v[2:5], v0 offset:16
	s_add_co_i32 s4, s4, -1
	s_wait_dscnt 0x0
	s_cmp_lg_u32 s4, 0
	s_barrier_signal -1
	s_barrier_wait -1
	s_cbranch_scc1 .LBB145_1
; %bb.2:
	s_add_nc_u64 s[0:1], s[0:1], s[2:3]
	s_clause 0x1
	global_store_b128 v1, v[6:9], s[0:1] scale_offset
	global_store_b128 v1, v[2:5], s[0:1] offset:16 scale_offset
	s_endpgm
	.section	.rodata,"a",@progbits
	.p2align	6, 0x0
	.amdhsa_kernel _Z6kernelI18scatter_to_blockedN15benchmark_utils11custom_typeIddEELj256ELj2ELj100EEvPKT0_PKjPS4_
		.amdhsa_group_segment_fixed_size 8448
		.amdhsa_private_segment_fixed_size 0
		.amdhsa_kernarg_size 24
		.amdhsa_user_sgpr_count 2
		.amdhsa_user_sgpr_dispatch_ptr 0
		.amdhsa_user_sgpr_queue_ptr 0
		.amdhsa_user_sgpr_kernarg_segment_ptr 1
		.amdhsa_user_sgpr_dispatch_id 0
		.amdhsa_user_sgpr_kernarg_preload_length 0
		.amdhsa_user_sgpr_kernarg_preload_offset 0
		.amdhsa_user_sgpr_private_segment_size 0
		.amdhsa_wavefront_size32 1
		.amdhsa_uses_dynamic_stack 0
		.amdhsa_enable_private_segment 0
		.amdhsa_system_sgpr_workgroup_id_x 1
		.amdhsa_system_sgpr_workgroup_id_y 0
		.amdhsa_system_sgpr_workgroup_id_z 0
		.amdhsa_system_sgpr_workgroup_info 0
		.amdhsa_system_vgpr_workitem_id 0
		.amdhsa_next_free_vgpr 15
		.amdhsa_next_free_sgpr 10
		.amdhsa_named_barrier_count 0
		.amdhsa_reserve_vcc 0
		.amdhsa_float_round_mode_32 0
		.amdhsa_float_round_mode_16_64 0
		.amdhsa_float_denorm_mode_32 3
		.amdhsa_float_denorm_mode_16_64 3
		.amdhsa_fp16_overflow 0
		.amdhsa_memory_ordered 1
		.amdhsa_forward_progress 1
		.amdhsa_inst_pref_size 3
		.amdhsa_round_robin_scheduling 0
		.amdhsa_exception_fp_ieee_invalid_op 0
		.amdhsa_exception_fp_denorm_src 0
		.amdhsa_exception_fp_ieee_div_zero 0
		.amdhsa_exception_fp_ieee_overflow 0
		.amdhsa_exception_fp_ieee_underflow 0
		.amdhsa_exception_fp_ieee_inexact 0
		.amdhsa_exception_int_div_zero 0
	.end_amdhsa_kernel
	.section	.text._Z6kernelI18scatter_to_blockedN15benchmark_utils11custom_typeIddEELj256ELj2ELj100EEvPKT0_PKjPS4_,"axG",@progbits,_Z6kernelI18scatter_to_blockedN15benchmark_utils11custom_typeIddEELj256ELj2ELj100EEvPKT0_PKjPS4_,comdat
.Lfunc_end145:
	.size	_Z6kernelI18scatter_to_blockedN15benchmark_utils11custom_typeIddEELj256ELj2ELj100EEvPKT0_PKjPS4_, .Lfunc_end145-_Z6kernelI18scatter_to_blockedN15benchmark_utils11custom_typeIddEELj256ELj2ELj100EEvPKT0_PKjPS4_
                                        ; -- End function
	.set _Z6kernelI18scatter_to_blockedN15benchmark_utils11custom_typeIddEELj256ELj2ELj100EEvPKT0_PKjPS4_.num_vgpr, 15
	.set _Z6kernelI18scatter_to_blockedN15benchmark_utils11custom_typeIddEELj256ELj2ELj100EEvPKT0_PKjPS4_.num_agpr, 0
	.set _Z6kernelI18scatter_to_blockedN15benchmark_utils11custom_typeIddEELj256ELj2ELj100EEvPKT0_PKjPS4_.numbered_sgpr, 10
	.set _Z6kernelI18scatter_to_blockedN15benchmark_utils11custom_typeIddEELj256ELj2ELj100EEvPKT0_PKjPS4_.num_named_barrier, 0
	.set _Z6kernelI18scatter_to_blockedN15benchmark_utils11custom_typeIddEELj256ELj2ELj100EEvPKT0_PKjPS4_.private_seg_size, 0
	.set _Z6kernelI18scatter_to_blockedN15benchmark_utils11custom_typeIddEELj256ELj2ELj100EEvPKT0_PKjPS4_.uses_vcc, 0
	.set _Z6kernelI18scatter_to_blockedN15benchmark_utils11custom_typeIddEELj256ELj2ELj100EEvPKT0_PKjPS4_.uses_flat_scratch, 0
	.set _Z6kernelI18scatter_to_blockedN15benchmark_utils11custom_typeIddEELj256ELj2ELj100EEvPKT0_PKjPS4_.has_dyn_sized_stack, 0
	.set _Z6kernelI18scatter_to_blockedN15benchmark_utils11custom_typeIddEELj256ELj2ELj100EEvPKT0_PKjPS4_.has_recursion, 0
	.set _Z6kernelI18scatter_to_blockedN15benchmark_utils11custom_typeIddEELj256ELj2ELj100EEvPKT0_PKjPS4_.has_indirect_call, 0
	.section	.AMDGPU.csdata,"",@progbits
; Kernel info:
; codeLenInByte = 336
; TotalNumSgprs: 10
; NumVgprs: 15
; ScratchSize: 0
; MemoryBound: 0
; FloatMode: 240
; IeeeMode: 1
; LDSByteSize: 8448 bytes/workgroup (compile time only)
; SGPRBlocks: 0
; VGPRBlocks: 0
; NumSGPRsForWavesPerEU: 10
; NumVGPRsForWavesPerEU: 15
; NamedBarCnt: 0
; Occupancy: 16
; WaveLimiterHint : 1
; COMPUTE_PGM_RSRC2:SCRATCH_EN: 0
; COMPUTE_PGM_RSRC2:USER_SGPR: 2
; COMPUTE_PGM_RSRC2:TRAP_HANDLER: 0
; COMPUTE_PGM_RSRC2:TGID_X_EN: 1
; COMPUTE_PGM_RSRC2:TGID_Y_EN: 0
; COMPUTE_PGM_RSRC2:TGID_Z_EN: 0
; COMPUTE_PGM_RSRC2:TIDIG_COMP_CNT: 0
	.section	.text._Z6kernelI18scatter_to_blockedN15benchmark_utils11custom_typeIddEELj256ELj3ELj100EEvPKT0_PKjPS4_,"axG",@progbits,_Z6kernelI18scatter_to_blockedN15benchmark_utils11custom_typeIddEELj256ELj3ELj100EEvPKT0_PKjPS4_,comdat
	.protected	_Z6kernelI18scatter_to_blockedN15benchmark_utils11custom_typeIddEELj256ELj3ELj100EEvPKT0_PKjPS4_ ; -- Begin function _Z6kernelI18scatter_to_blockedN15benchmark_utils11custom_typeIddEELj256ELj3ELj100EEvPKT0_PKjPS4_
	.globl	_Z6kernelI18scatter_to_blockedN15benchmark_utils11custom_typeIddEELj256ELj3ELj100EEvPKT0_PKjPS4_
	.p2align	8
	.type	_Z6kernelI18scatter_to_blockedN15benchmark_utils11custom_typeIddEELj256ELj3ELj100EEvPKT0_PKjPS4_,@function
_Z6kernelI18scatter_to_blockedN15benchmark_utils11custom_typeIddEELj256ELj3ELj100EEvPKT0_PKjPS4_: ; @_Z6kernelI18scatter_to_blockedN15benchmark_utils11custom_typeIddEELj256ELj3ELj100EEvPKT0_PKjPS4_
; %bb.0:
	s_load_b128 s[4:7], s[0:1], 0x0
	s_bfe_u32 s2, ttmp6, 0x4000c
	s_and_b32 s3, ttmp6, 15
	s_add_co_i32 s2, s2, 1
	s_getreg_b32 s8, hwreg(HW_REG_IB_STS2, 6, 4)
	s_mul_i32 s2, ttmp9, s2
	s_wait_xcnt 0x0
	s_load_b64 s[0:1], s[0:1], 0x10
	s_add_co_i32 s3, s3, s2
	s_cmp_eq_u32 s8, 0
	s_cselect_b32 s2, ttmp9, s3
	s_mov_b32 s3, 0
	s_mulk_i32 s2, 0x300
	s_delay_alu instid0(SALU_CYCLE_1)
	s_lshl_b64 s[8:9], s[2:3], 2
	s_lshl_b64 s[2:3], s[2:3], 4
	s_wait_kmcnt 0x0
	s_add_nc_u64 s[6:7], s[6:7], s[8:9]
	s_add_nc_u64 s[4:5], s[4:5], s[2:3]
	s_clause 0x5
	global_load_b32 v1, v0, s[6:7] scale_offset
	global_load_b32 v14, v0, s[6:7] offset:1024 scale_offset
	global_load_b32 v15, v0, s[6:7] offset:2048 scale_offset
	global_load_b128 v[2:5], v0, s[4:5] offset:8192 scale_offset
	global_load_b128 v[10:13], v0, s[4:5] scale_offset
	global_load_b128 v[6:9], v0, s[4:5] offset:4096 scale_offset
	s_wait_xcnt 0x0
	v_mul_u32_u24_e32 v0, 3, v0
	s_movk_i32 s4, 0x64
	s_wait_loadcnt 0x5
	s_delay_alu instid0(VALU_DEP_1)
	v_dual_lshlrev_b32 v16, 4, v0 :: v_dual_lshlrev_b32 v1, 4, v1
	s_wait_loadcnt 0x3
	v_dual_lshlrev_b32 v14, 4, v14 :: v_dual_lshlrev_b32 v15, 4, v15
.LBB146_1:                              ; =>This Inner Loop Header: Depth=1
	s_wait_loadcnt 0x1
	ds_store_b128 v1, v[10:13]
	s_wait_loadcnt 0x0
	ds_store_b128 v14, v[6:9]
	ds_store_b128 v15, v[2:5]
	s_wait_dscnt 0x0
	s_barrier_signal -1
	s_barrier_wait -1
	ds_load_b128 v[10:13], v16
	ds_load_b128 v[6:9], v16 offset:16
	ds_load_b128 v[2:5], v16 offset:32
	s_add_co_i32 s4, s4, -1
	s_wait_dscnt 0x0
	s_cmp_lg_u32 s4, 0
	s_barrier_signal -1
	s_barrier_wait -1
	s_cbranch_scc1 .LBB146_1
; %bb.2:
	s_add_nc_u64 s[0:1], s[0:1], s[2:3]
	s_clause 0x2
	global_store_b128 v0, v[10:13], s[0:1] scale_offset
	global_store_b128 v0, v[6:9], s[0:1] offset:16 scale_offset
	global_store_b128 v0, v[2:5], s[0:1] offset:32 scale_offset
	s_endpgm
	.section	.rodata,"a",@progbits
	.p2align	6, 0x0
	.amdhsa_kernel _Z6kernelI18scatter_to_blockedN15benchmark_utils11custom_typeIddEELj256ELj3ELj100EEvPKT0_PKjPS4_
		.amdhsa_group_segment_fixed_size 12288
		.amdhsa_private_segment_fixed_size 0
		.amdhsa_kernarg_size 24
		.amdhsa_user_sgpr_count 2
		.amdhsa_user_sgpr_dispatch_ptr 0
		.amdhsa_user_sgpr_queue_ptr 0
		.amdhsa_user_sgpr_kernarg_segment_ptr 1
		.amdhsa_user_sgpr_dispatch_id 0
		.amdhsa_user_sgpr_kernarg_preload_length 0
		.amdhsa_user_sgpr_kernarg_preload_offset 0
		.amdhsa_user_sgpr_private_segment_size 0
		.amdhsa_wavefront_size32 1
		.amdhsa_uses_dynamic_stack 0
		.amdhsa_enable_private_segment 0
		.amdhsa_system_sgpr_workgroup_id_x 1
		.amdhsa_system_sgpr_workgroup_id_y 0
		.amdhsa_system_sgpr_workgroup_id_z 0
		.amdhsa_system_sgpr_workgroup_info 0
		.amdhsa_system_vgpr_workitem_id 0
		.amdhsa_next_free_vgpr 17
		.amdhsa_next_free_sgpr 10
		.amdhsa_named_barrier_count 0
		.amdhsa_reserve_vcc 0
		.amdhsa_float_round_mode_32 0
		.amdhsa_float_round_mode_16_64 0
		.amdhsa_float_denorm_mode_32 3
		.amdhsa_float_denorm_mode_16_64 3
		.amdhsa_fp16_overflow 0
		.amdhsa_memory_ordered 1
		.amdhsa_forward_progress 1
		.amdhsa_inst_pref_size 3
		.amdhsa_round_robin_scheduling 0
		.amdhsa_exception_fp_ieee_invalid_op 0
		.amdhsa_exception_fp_denorm_src 0
		.amdhsa_exception_fp_ieee_div_zero 0
		.amdhsa_exception_fp_ieee_overflow 0
		.amdhsa_exception_fp_ieee_underflow 0
		.amdhsa_exception_fp_ieee_inexact 0
		.amdhsa_exception_int_div_zero 0
	.end_amdhsa_kernel
	.section	.text._Z6kernelI18scatter_to_blockedN15benchmark_utils11custom_typeIddEELj256ELj3ELj100EEvPKT0_PKjPS4_,"axG",@progbits,_Z6kernelI18scatter_to_blockedN15benchmark_utils11custom_typeIddEELj256ELj3ELj100EEvPKT0_PKjPS4_,comdat
.Lfunc_end146:
	.size	_Z6kernelI18scatter_to_blockedN15benchmark_utils11custom_typeIddEELj256ELj3ELj100EEvPKT0_PKjPS4_, .Lfunc_end146-_Z6kernelI18scatter_to_blockedN15benchmark_utils11custom_typeIddEELj256ELj3ELj100EEvPKT0_PKjPS4_
                                        ; -- End function
	.set _Z6kernelI18scatter_to_blockedN15benchmark_utils11custom_typeIddEELj256ELj3ELj100EEvPKT0_PKjPS4_.num_vgpr, 17
	.set _Z6kernelI18scatter_to_blockedN15benchmark_utils11custom_typeIddEELj256ELj3ELj100EEvPKT0_PKjPS4_.num_agpr, 0
	.set _Z6kernelI18scatter_to_blockedN15benchmark_utils11custom_typeIddEELj256ELj3ELj100EEvPKT0_PKjPS4_.numbered_sgpr, 10
	.set _Z6kernelI18scatter_to_blockedN15benchmark_utils11custom_typeIddEELj256ELj3ELj100EEvPKT0_PKjPS4_.num_named_barrier, 0
	.set _Z6kernelI18scatter_to_blockedN15benchmark_utils11custom_typeIddEELj256ELj3ELj100EEvPKT0_PKjPS4_.private_seg_size, 0
	.set _Z6kernelI18scatter_to_blockedN15benchmark_utils11custom_typeIddEELj256ELj3ELj100EEvPKT0_PKjPS4_.uses_vcc, 0
	.set _Z6kernelI18scatter_to_blockedN15benchmark_utils11custom_typeIddEELj256ELj3ELj100EEvPKT0_PKjPS4_.uses_flat_scratch, 0
	.set _Z6kernelI18scatter_to_blockedN15benchmark_utils11custom_typeIddEELj256ELj3ELj100EEvPKT0_PKjPS4_.has_dyn_sized_stack, 0
	.set _Z6kernelI18scatter_to_blockedN15benchmark_utils11custom_typeIddEELj256ELj3ELj100EEvPKT0_PKjPS4_.has_recursion, 0
	.set _Z6kernelI18scatter_to_blockedN15benchmark_utils11custom_typeIddEELj256ELj3ELj100EEvPKT0_PKjPS4_.has_indirect_call, 0
	.section	.AMDGPU.csdata,"",@progbits
; Kernel info:
; codeLenInByte = 352
; TotalNumSgprs: 10
; NumVgprs: 17
; ScratchSize: 0
; MemoryBound: 0
; FloatMode: 240
; IeeeMode: 1
; LDSByteSize: 12288 bytes/workgroup (compile time only)
; SGPRBlocks: 0
; VGPRBlocks: 1
; NumSGPRsForWavesPerEU: 10
; NumVGPRsForWavesPerEU: 17
; NamedBarCnt: 0
; Occupancy: 16
; WaveLimiterHint : 1
; COMPUTE_PGM_RSRC2:SCRATCH_EN: 0
; COMPUTE_PGM_RSRC2:USER_SGPR: 2
; COMPUTE_PGM_RSRC2:TRAP_HANDLER: 0
; COMPUTE_PGM_RSRC2:TGID_X_EN: 1
; COMPUTE_PGM_RSRC2:TGID_Y_EN: 0
; COMPUTE_PGM_RSRC2:TGID_Z_EN: 0
; COMPUTE_PGM_RSRC2:TIDIG_COMP_CNT: 0
	.section	.text._Z6kernelI18scatter_to_blockedN15benchmark_utils11custom_typeIddEELj256ELj4ELj100EEvPKT0_PKjPS4_,"axG",@progbits,_Z6kernelI18scatter_to_blockedN15benchmark_utils11custom_typeIddEELj256ELj4ELj100EEvPKT0_PKjPS4_,comdat
	.protected	_Z6kernelI18scatter_to_blockedN15benchmark_utils11custom_typeIddEELj256ELj4ELj100EEvPKT0_PKjPS4_ ; -- Begin function _Z6kernelI18scatter_to_blockedN15benchmark_utils11custom_typeIddEELj256ELj4ELj100EEvPKT0_PKjPS4_
	.globl	_Z6kernelI18scatter_to_blockedN15benchmark_utils11custom_typeIddEELj256ELj4ELj100EEvPKT0_PKjPS4_
	.p2align	8
	.type	_Z6kernelI18scatter_to_blockedN15benchmark_utils11custom_typeIddEELj256ELj4ELj100EEvPKT0_PKjPS4_,@function
_Z6kernelI18scatter_to_blockedN15benchmark_utils11custom_typeIddEELj256ELj4ELj100EEvPKT0_PKjPS4_: ; @_Z6kernelI18scatter_to_blockedN15benchmark_utils11custom_typeIddEELj256ELj4ELj100EEvPKT0_PKjPS4_
; %bb.0:
	s_load_b128 s[4:7], s[0:1], 0x0
	s_bfe_u32 s2, ttmp6, 0x4000c
	s_and_b32 s3, ttmp6, 15
	s_add_co_i32 s2, s2, 1
	s_getreg_b32 s8, hwreg(HW_REG_IB_STS2, 6, 4)
	s_mul_i32 s2, ttmp9, s2
	s_wait_xcnt 0x0
	s_load_b64 s[0:1], s[0:1], 0x10
	s_add_co_i32 s3, s3, s2
	s_cmp_eq_u32 s8, 0
	v_lshlrev_b32_e32 v26, 1, v0
	s_cselect_b32 s2, ttmp9, s3
	s_mov_b32 s3, 0
	s_lshl_b32 s2, s2, 10
	s_delay_alu instid0(SALU_CYCLE_1)
	s_lshl_b64 s[8:9], s[2:3], 2
	s_lshl_b64 s[2:3], s[2:3], 4
	v_and_b32_e32 v26, 0x1f0, v26
	s_wait_kmcnt 0x0
	s_add_nc_u64 s[6:7], s[6:7], s[8:9]
	s_clause 0x3
	global_load_b32 v18, v0, s[6:7] scale_offset
	global_load_b32 v19, v0, s[6:7] offset:1024 scale_offset
	global_load_b32 v20, v0, s[6:7] offset:2048 scale_offset
	;; [unrolled: 1-line block ×3, first 2 shown]
	s_add_nc_u64 s[4:5], s[4:5], s[2:3]
	s_clause 0x3
	global_load_b128 v[14:17], v0, s[4:5] scale_offset
	global_load_b128 v[10:13], v0, s[4:5] offset:4096 scale_offset
	global_load_b128 v[6:9], v0, s[4:5] offset:8192 scale_offset
	;; [unrolled: 1-line block ×3, first 2 shown]
	v_lshlrev_b32_e32 v1, 2, v0
	s_wait_xcnt 0x0
	s_movk_i32 s4, 0x64
	v_lshl_add_u32 v0, v0, 6, v26
	s_wait_loadcnt 0x6
	v_dual_lshrrev_b32 v22, 1, v18 :: v_dual_lshrrev_b32 v23, 1, v19
	s_wait_loadcnt 0x4
	v_dual_lshrrev_b32 v24, 1, v20 :: v_dual_lshrrev_b32 v25, 1, v21
	s_delay_alu instid0(VALU_DEP_2) | instskip(NEXT) | instid1(VALU_DEP_3)
	v_and_b32_e32 v22, 0x7ffffff0, v22
	v_and_b32_e32 v23, 0x7ffffff0, v23
	s_delay_alu instid0(VALU_DEP_3) | instskip(NEXT) | instid1(VALU_DEP_4)
	v_and_b32_e32 v24, 0x7ffffff0, v24
	v_and_b32_e32 v25, 0x7ffffff0, v25
	s_delay_alu instid0(VALU_DEP_4) | instskip(NEXT) | instid1(VALU_DEP_4)
	v_lshl_add_u32 v18, v18, 4, v22
	v_lshl_add_u32 v19, v19, 4, v23
	s_delay_alu instid0(VALU_DEP_4) | instskip(NEXT) | instid1(VALU_DEP_4)
	v_lshl_add_u32 v20, v20, 4, v24
	v_lshl_add_u32 v21, v21, 4, v25
.LBB147_1:                              ; =>This Inner Loop Header: Depth=1
	s_wait_loadcnt 0x3
	ds_store_b128 v18, v[14:17]
	s_wait_loadcnt 0x2
	ds_store_b128 v19, v[10:13]
	;; [unrolled: 2-line block ×4, first 2 shown]
	s_wait_dscnt 0x0
	s_barrier_signal -1
	s_barrier_wait -1
	ds_load_b128 v[14:17], v0
	ds_load_b128 v[10:13], v0 offset:16
	ds_load_b128 v[6:9], v0 offset:32
	;; [unrolled: 1-line block ×3, first 2 shown]
	s_add_co_i32 s4, s4, -1
	s_wait_dscnt 0x0
	s_cmp_lg_u32 s4, 0
	s_barrier_signal -1
	s_barrier_wait -1
	s_cbranch_scc1 .LBB147_1
; %bb.2:
	s_add_nc_u64 s[0:1], s[0:1], s[2:3]
	s_clause 0x3
	global_store_b128 v1, v[14:17], s[0:1] scale_offset
	global_store_b128 v1, v[10:13], s[0:1] offset:16 scale_offset
	global_store_b128 v1, v[6:9], s[0:1] offset:32 scale_offset
	;; [unrolled: 1-line block ×3, first 2 shown]
	s_endpgm
	.section	.rodata,"a",@progbits
	.p2align	6, 0x0
	.amdhsa_kernel _Z6kernelI18scatter_to_blockedN15benchmark_utils11custom_typeIddEELj256ELj4ELj100EEvPKT0_PKjPS4_
		.amdhsa_group_segment_fixed_size 16896
		.amdhsa_private_segment_fixed_size 0
		.amdhsa_kernarg_size 24
		.amdhsa_user_sgpr_count 2
		.amdhsa_user_sgpr_dispatch_ptr 0
		.amdhsa_user_sgpr_queue_ptr 0
		.amdhsa_user_sgpr_kernarg_segment_ptr 1
		.amdhsa_user_sgpr_dispatch_id 0
		.amdhsa_user_sgpr_kernarg_preload_length 0
		.amdhsa_user_sgpr_kernarg_preload_offset 0
		.amdhsa_user_sgpr_private_segment_size 0
		.amdhsa_wavefront_size32 1
		.amdhsa_uses_dynamic_stack 0
		.amdhsa_enable_private_segment 0
		.amdhsa_system_sgpr_workgroup_id_x 1
		.amdhsa_system_sgpr_workgroup_id_y 0
		.amdhsa_system_sgpr_workgroup_id_z 0
		.amdhsa_system_sgpr_workgroup_info 0
		.amdhsa_system_vgpr_workitem_id 0
		.amdhsa_next_free_vgpr 27
		.amdhsa_next_free_sgpr 10
		.amdhsa_named_barrier_count 0
		.amdhsa_reserve_vcc 0
		.amdhsa_float_round_mode_32 0
		.amdhsa_float_round_mode_16_64 0
		.amdhsa_float_denorm_mode_32 3
		.amdhsa_float_denorm_mode_16_64 3
		.amdhsa_fp16_overflow 0
		.amdhsa_memory_ordered 1
		.amdhsa_forward_progress 1
		.amdhsa_inst_pref_size 4
		.amdhsa_round_robin_scheduling 0
		.amdhsa_exception_fp_ieee_invalid_op 0
		.amdhsa_exception_fp_denorm_src 0
		.amdhsa_exception_fp_ieee_div_zero 0
		.amdhsa_exception_fp_ieee_overflow 0
		.amdhsa_exception_fp_ieee_underflow 0
		.amdhsa_exception_fp_ieee_inexact 0
		.amdhsa_exception_int_div_zero 0
	.end_amdhsa_kernel
	.section	.text._Z6kernelI18scatter_to_blockedN15benchmark_utils11custom_typeIddEELj256ELj4ELj100EEvPKT0_PKjPS4_,"axG",@progbits,_Z6kernelI18scatter_to_blockedN15benchmark_utils11custom_typeIddEELj256ELj4ELj100EEvPKT0_PKjPS4_,comdat
.Lfunc_end147:
	.size	_Z6kernelI18scatter_to_blockedN15benchmark_utils11custom_typeIddEELj256ELj4ELj100EEvPKT0_PKjPS4_, .Lfunc_end147-_Z6kernelI18scatter_to_blockedN15benchmark_utils11custom_typeIddEELj256ELj4ELj100EEvPKT0_PKjPS4_
                                        ; -- End function
	.set _Z6kernelI18scatter_to_blockedN15benchmark_utils11custom_typeIddEELj256ELj4ELj100EEvPKT0_PKjPS4_.num_vgpr, 27
	.set _Z6kernelI18scatter_to_blockedN15benchmark_utils11custom_typeIddEELj256ELj4ELj100EEvPKT0_PKjPS4_.num_agpr, 0
	.set _Z6kernelI18scatter_to_blockedN15benchmark_utils11custom_typeIddEELj256ELj4ELj100EEvPKT0_PKjPS4_.numbered_sgpr, 10
	.set _Z6kernelI18scatter_to_blockedN15benchmark_utils11custom_typeIddEELj256ELj4ELj100EEvPKT0_PKjPS4_.num_named_barrier, 0
	.set _Z6kernelI18scatter_to_blockedN15benchmark_utils11custom_typeIddEELj256ELj4ELj100EEvPKT0_PKjPS4_.private_seg_size, 0
	.set _Z6kernelI18scatter_to_blockedN15benchmark_utils11custom_typeIddEELj256ELj4ELj100EEvPKT0_PKjPS4_.uses_vcc, 0
	.set _Z6kernelI18scatter_to_blockedN15benchmark_utils11custom_typeIddEELj256ELj4ELj100EEvPKT0_PKjPS4_.uses_flat_scratch, 0
	.set _Z6kernelI18scatter_to_blockedN15benchmark_utils11custom_typeIddEELj256ELj4ELj100EEvPKT0_PKjPS4_.has_dyn_sized_stack, 0
	.set _Z6kernelI18scatter_to_blockedN15benchmark_utils11custom_typeIddEELj256ELj4ELj100EEvPKT0_PKjPS4_.has_recursion, 0
	.set _Z6kernelI18scatter_to_blockedN15benchmark_utils11custom_typeIddEELj256ELj4ELj100EEvPKT0_PKjPS4_.has_indirect_call, 0
	.section	.AMDGPU.csdata,"",@progbits
; Kernel info:
; codeLenInByte = 512
; TotalNumSgprs: 10
; NumVgprs: 27
; ScratchSize: 0
; MemoryBound: 0
; FloatMode: 240
; IeeeMode: 1
; LDSByteSize: 16896 bytes/workgroup (compile time only)
; SGPRBlocks: 0
; VGPRBlocks: 1
; NumSGPRsForWavesPerEU: 10
; NumVGPRsForWavesPerEU: 27
; NamedBarCnt: 0
; Occupancy: 16
; WaveLimiterHint : 1
; COMPUTE_PGM_RSRC2:SCRATCH_EN: 0
; COMPUTE_PGM_RSRC2:USER_SGPR: 2
; COMPUTE_PGM_RSRC2:TRAP_HANDLER: 0
; COMPUTE_PGM_RSRC2:TGID_X_EN: 1
; COMPUTE_PGM_RSRC2:TGID_Y_EN: 0
; COMPUTE_PGM_RSRC2:TGID_Z_EN: 0
; COMPUTE_PGM_RSRC2:TIDIG_COMP_CNT: 0
	.section	.text._Z6kernelI18scatter_to_blockedN15benchmark_utils11custom_typeIddEELj256ELj7ELj100EEvPKT0_PKjPS4_,"axG",@progbits,_Z6kernelI18scatter_to_blockedN15benchmark_utils11custom_typeIddEELj256ELj7ELj100EEvPKT0_PKjPS4_,comdat
	.protected	_Z6kernelI18scatter_to_blockedN15benchmark_utils11custom_typeIddEELj256ELj7ELj100EEvPKT0_PKjPS4_ ; -- Begin function _Z6kernelI18scatter_to_blockedN15benchmark_utils11custom_typeIddEELj256ELj7ELj100EEvPKT0_PKjPS4_
	.globl	_Z6kernelI18scatter_to_blockedN15benchmark_utils11custom_typeIddEELj256ELj7ELj100EEvPKT0_PKjPS4_
	.p2align	8
	.type	_Z6kernelI18scatter_to_blockedN15benchmark_utils11custom_typeIddEELj256ELj7ELj100EEvPKT0_PKjPS4_,@function
_Z6kernelI18scatter_to_blockedN15benchmark_utils11custom_typeIddEELj256ELj7ELj100EEvPKT0_PKjPS4_: ; @_Z6kernelI18scatter_to_blockedN15benchmark_utils11custom_typeIddEELj256ELj7ELj100EEvPKT0_PKjPS4_
; %bb.0:
	s_load_b128 s[4:7], s[0:1], 0x0
	s_bfe_u32 s2, ttmp6, 0x4000c
	s_and_b32 s3, ttmp6, 15
	s_add_co_i32 s2, s2, 1
	s_getreg_b32 s8, hwreg(HW_REG_IB_STS2, 6, 4)
	s_mul_i32 s2, ttmp9, s2
	s_mov_b32 s9, 0
	s_add_co_i32 s3, s3, s2
	s_cmp_eq_u32 s8, 0
	s_wait_xcnt 0x0
	s_load_b64 s[0:1], s[0:1], 0x10
	s_cselect_b32 s2, ttmp9, s3
	s_delay_alu instid0(SALU_CYCLE_1) | instskip(NEXT) | instid1(SALU_CYCLE_1)
	s_mul_i32 s8, s2, 0x700
	s_lshl_b64 s[2:3], s[8:9], 4
	s_lshl_b64 s[8:9], s[8:9], 2
	s_wait_kmcnt 0x0
	s_add_nc_u64 s[4:5], s[4:5], s[2:3]
	s_add_nc_u64 s[6:7], s[6:7], s[8:9]
	s_clause 0xd
	global_load_b128 v[2:5], v0, s[4:5] offset:24576 scale_offset
	global_load_b32 v1, v0, s[6:7] scale_offset
	global_load_b32 v30, v0, s[6:7] offset:1024 scale_offset
	global_load_b32 v31, v0, s[6:7] offset:2048 scale_offset
	;; [unrolled: 1-line block ×6, first 2 shown]
	global_load_b128 v[26:29], v0, s[4:5] scale_offset
	global_load_b128 v[22:25], v0, s[4:5] offset:4096 scale_offset
	global_load_b128 v[10:13], v0, s[4:5] offset:8192 scale_offset
	;; [unrolled: 1-line block ×5, first 2 shown]
	s_wait_xcnt 0x0
	v_mul_u32_u24_e32 v0, 7, v0
	s_movk_i32 s4, 0x64
	s_wait_loadcnt 0xc
	s_delay_alu instid0(VALU_DEP_1)
	v_dual_lshlrev_b32 v36, 4, v0 :: v_dual_lshlrev_b32 v1, 4, v1
	s_wait_loadcnt 0xa
	v_dual_lshlrev_b32 v30, 4, v30 :: v_dual_lshlrev_b32 v31, 4, v31
	s_wait_loadcnt 0x8
	;; [unrolled: 2-line block ×3, first 2 shown]
	v_dual_lshlrev_b32 v34, 4, v34 :: v_dual_lshlrev_b32 v35, 4, v35
.LBB148_1:                              ; =>This Inner Loop Header: Depth=1
	s_wait_loadcnt 0x5
	ds_store_b128 v1, v[26:29]
	s_wait_loadcnt 0x4
	ds_store_b128 v30, v[22:25]
	;; [unrolled: 2-line block ×6, first 2 shown]
	ds_store_b128 v35, v[2:5]
	s_wait_dscnt 0x0
	s_barrier_signal -1
	s_barrier_wait -1
	ds_load_b128 v[26:29], v36
	ds_load_b128 v[22:25], v36 offset:16
	ds_load_b128 v[10:13], v36 offset:32
	;; [unrolled: 1-line block ×6, first 2 shown]
	s_add_co_i32 s4, s4, -1
	s_wait_dscnt 0x0
	s_cmp_lg_u32 s4, 0
	s_barrier_signal -1
	s_barrier_wait -1
	s_cbranch_scc1 .LBB148_1
; %bb.2:
	s_add_nc_u64 s[0:1], s[0:1], s[2:3]
	s_clause 0x6
	global_store_b128 v0, v[26:29], s[0:1] scale_offset
	global_store_b128 v0, v[22:25], s[0:1] offset:16 scale_offset
	global_store_b128 v0, v[10:13], s[0:1] offset:32 scale_offset
	;; [unrolled: 1-line block ×6, first 2 shown]
	s_endpgm
	.section	.rodata,"a",@progbits
	.p2align	6, 0x0
	.amdhsa_kernel _Z6kernelI18scatter_to_blockedN15benchmark_utils11custom_typeIddEELj256ELj7ELj100EEvPKT0_PKjPS4_
		.amdhsa_group_segment_fixed_size 28672
		.amdhsa_private_segment_fixed_size 0
		.amdhsa_kernarg_size 24
		.amdhsa_user_sgpr_count 2
		.amdhsa_user_sgpr_dispatch_ptr 0
		.amdhsa_user_sgpr_queue_ptr 0
		.amdhsa_user_sgpr_kernarg_segment_ptr 1
		.amdhsa_user_sgpr_dispatch_id 0
		.amdhsa_user_sgpr_kernarg_preload_length 0
		.amdhsa_user_sgpr_kernarg_preload_offset 0
		.amdhsa_user_sgpr_private_segment_size 0
		.amdhsa_wavefront_size32 1
		.amdhsa_uses_dynamic_stack 0
		.amdhsa_enable_private_segment 0
		.amdhsa_system_sgpr_workgroup_id_x 1
		.amdhsa_system_sgpr_workgroup_id_y 0
		.amdhsa_system_sgpr_workgroup_id_z 0
		.amdhsa_system_sgpr_workgroup_info 0
		.amdhsa_system_vgpr_workitem_id 0
		.amdhsa_next_free_vgpr 37
		.amdhsa_next_free_sgpr 10
		.amdhsa_named_barrier_count 0
		.amdhsa_reserve_vcc 0
		.amdhsa_float_round_mode_32 0
		.amdhsa_float_round_mode_16_64 0
		.amdhsa_float_denorm_mode_32 3
		.amdhsa_float_denorm_mode_16_64 3
		.amdhsa_fp16_overflow 0
		.amdhsa_memory_ordered 1
		.amdhsa_forward_progress 1
		.amdhsa_inst_pref_size 5
		.amdhsa_round_robin_scheduling 0
		.amdhsa_exception_fp_ieee_invalid_op 0
		.amdhsa_exception_fp_denorm_src 0
		.amdhsa_exception_fp_ieee_div_zero 0
		.amdhsa_exception_fp_ieee_overflow 0
		.amdhsa_exception_fp_ieee_underflow 0
		.amdhsa_exception_fp_ieee_inexact 0
		.amdhsa_exception_int_div_zero 0
	.end_amdhsa_kernel
	.section	.text._Z6kernelI18scatter_to_blockedN15benchmark_utils11custom_typeIddEELj256ELj7ELj100EEvPKT0_PKjPS4_,"axG",@progbits,_Z6kernelI18scatter_to_blockedN15benchmark_utils11custom_typeIddEELj256ELj7ELj100EEvPKT0_PKjPS4_,comdat
.Lfunc_end148:
	.size	_Z6kernelI18scatter_to_blockedN15benchmark_utils11custom_typeIddEELj256ELj7ELj100EEvPKT0_PKjPS4_, .Lfunc_end148-_Z6kernelI18scatter_to_blockedN15benchmark_utils11custom_typeIddEELj256ELj7ELj100EEvPKT0_PKjPS4_
                                        ; -- End function
	.set _Z6kernelI18scatter_to_blockedN15benchmark_utils11custom_typeIddEELj256ELj7ELj100EEvPKT0_PKjPS4_.num_vgpr, 37
	.set _Z6kernelI18scatter_to_blockedN15benchmark_utils11custom_typeIddEELj256ELj7ELj100EEvPKT0_PKjPS4_.num_agpr, 0
	.set _Z6kernelI18scatter_to_blockedN15benchmark_utils11custom_typeIddEELj256ELj7ELj100EEvPKT0_PKjPS4_.numbered_sgpr, 10
	.set _Z6kernelI18scatter_to_blockedN15benchmark_utils11custom_typeIddEELj256ELj7ELj100EEvPKT0_PKjPS4_.num_named_barrier, 0
	.set _Z6kernelI18scatter_to_blockedN15benchmark_utils11custom_typeIddEELj256ELj7ELj100EEvPKT0_PKjPS4_.private_seg_size, 0
	.set _Z6kernelI18scatter_to_blockedN15benchmark_utils11custom_typeIddEELj256ELj7ELj100EEvPKT0_PKjPS4_.uses_vcc, 0
	.set _Z6kernelI18scatter_to_blockedN15benchmark_utils11custom_typeIddEELj256ELj7ELj100EEvPKT0_PKjPS4_.uses_flat_scratch, 0
	.set _Z6kernelI18scatter_to_blockedN15benchmark_utils11custom_typeIddEELj256ELj7ELj100EEvPKT0_PKjPS4_.has_dyn_sized_stack, 0
	.set _Z6kernelI18scatter_to_blockedN15benchmark_utils11custom_typeIddEELj256ELj7ELj100EEvPKT0_PKjPS4_.has_recursion, 0
	.set _Z6kernelI18scatter_to_blockedN15benchmark_utils11custom_typeIddEELj256ELj7ELj100EEvPKT0_PKjPS4_.has_indirect_call, 0
	.section	.AMDGPU.csdata,"",@progbits
; Kernel info:
; codeLenInByte = 612
; TotalNumSgprs: 10
; NumVgprs: 37
; ScratchSize: 0
; MemoryBound: 1
; FloatMode: 240
; IeeeMode: 1
; LDSByteSize: 28672 bytes/workgroup (compile time only)
; SGPRBlocks: 0
; VGPRBlocks: 2
; NumSGPRsForWavesPerEU: 10
; NumVGPRsForWavesPerEU: 37
; NamedBarCnt: 0
; Occupancy: 16
; WaveLimiterHint : 1
; COMPUTE_PGM_RSRC2:SCRATCH_EN: 0
; COMPUTE_PGM_RSRC2:USER_SGPR: 2
; COMPUTE_PGM_RSRC2:TRAP_HANDLER: 0
; COMPUTE_PGM_RSRC2:TGID_X_EN: 1
; COMPUTE_PGM_RSRC2:TGID_Y_EN: 0
; COMPUTE_PGM_RSRC2:TGID_Z_EN: 0
; COMPUTE_PGM_RSRC2:TIDIG_COMP_CNT: 0
	.section	.text._Z6kernelI18scatter_to_blockedN15benchmark_utils11custom_typeIddEELj256ELj8ELj100EEvPKT0_PKjPS4_,"axG",@progbits,_Z6kernelI18scatter_to_blockedN15benchmark_utils11custom_typeIddEELj256ELj8ELj100EEvPKT0_PKjPS4_,comdat
	.protected	_Z6kernelI18scatter_to_blockedN15benchmark_utils11custom_typeIddEELj256ELj8ELj100EEvPKT0_PKjPS4_ ; -- Begin function _Z6kernelI18scatter_to_blockedN15benchmark_utils11custom_typeIddEELj256ELj8ELj100EEvPKT0_PKjPS4_
	.globl	_Z6kernelI18scatter_to_blockedN15benchmark_utils11custom_typeIddEELj256ELj8ELj100EEvPKT0_PKjPS4_
	.p2align	8
	.type	_Z6kernelI18scatter_to_blockedN15benchmark_utils11custom_typeIddEELj256ELj8ELj100EEvPKT0_PKjPS4_,@function
_Z6kernelI18scatter_to_blockedN15benchmark_utils11custom_typeIddEELj256ELj8ELj100EEvPKT0_PKjPS4_: ; @_Z6kernelI18scatter_to_blockedN15benchmark_utils11custom_typeIddEELj256ELj8ELj100EEvPKT0_PKjPS4_
; %bb.0:
	s_load_b128 s[4:7], s[0:1], 0x0
	s_bfe_u32 s2, ttmp6, 0x4000c
	s_and_b32 s3, ttmp6, 15
	s_add_co_i32 s2, s2, 1
	s_getreg_b32 s8, hwreg(HW_REG_IB_STS2, 6, 4)
	s_mul_i32 s2, ttmp9, s2
	s_wait_xcnt 0x0
	s_load_b64 s[0:1], s[0:1], 0x10
	s_add_co_i32 s3, s3, s2
	s_cmp_eq_u32 s8, 0
	v_dual_lshlrev_b32 v42, 2, v0 :: v_dual_lshlrev_b32 v1, 3, v0
	s_cselect_b32 s2, ttmp9, s3
	s_mov_b32 s3, 0
	s_lshl_b32 s2, s2, 11
	s_delay_alu instid0(VALU_DEP_1)
	v_and_b32_e32 v42, 0x3f0, v42
	s_lshl_b64 s[8:9], s[2:3], 2
	s_lshl_b64 s[2:3], s[2:3], 4
	s_wait_kmcnt 0x0
	s_add_nc_u64 s[6:7], s[6:7], s[8:9]
	s_add_nc_u64 s[4:5], s[4:5], s[2:3]
	s_clause 0xf
	global_load_b32 v34, v0, s[6:7] scale_offset
	global_load_b32 v35, v0, s[6:7] offset:1024 scale_offset
	global_load_b32 v36, v0, s[6:7] offset:2048 scale_offset
	;; [unrolled: 1-line block ×7, first 2 shown]
	global_load_b128 v[30:33], v0, s[4:5] scale_offset
	global_load_b128 v[26:29], v0, s[4:5] offset:4096 scale_offset
	global_load_b128 v[6:9], v0, s[4:5] offset:8192 scale_offset
	global_load_b128 v[2:5], v0, s[4:5] offset:12288 scale_offset
	global_load_b128 v[22:25], v0, s[4:5] offset:16384 scale_offset
	global_load_b128 v[18:21], v0, s[4:5] offset:20480 scale_offset
	global_load_b128 v[14:17], v0, s[4:5] offset:24576 scale_offset
	global_load_b128 v[10:13], v0, s[4:5] offset:28672 scale_offset
	s_wait_xcnt 0x0
	v_lshl_add_u32 v0, v0, 7, v42
	s_movk_i32 s4, 0x64
	s_wait_loadcnt 0xe
	v_dual_lshrrev_b32 v43, 1, v34 :: v_dual_lshrrev_b32 v44, 1, v35
	s_wait_loadcnt 0xc
	v_dual_lshrrev_b32 v45, 1, v36 :: v_dual_lshrrev_b32 v46, 1, v37
	;; [unrolled: 2-line block ×4, first 2 shown]
	v_and_b32_e32 v43, 0x7ffffff0, v43
	v_and_b32_e32 v44, 0x7ffffff0, v44
	;; [unrolled: 1-line block ×8, first 2 shown]
	v_lshl_add_u32 v34, v34, 4, v43
	v_lshl_add_u32 v35, v35, 4, v44
	;; [unrolled: 1-line block ×8, first 2 shown]
.LBB149_1:                              ; =>This Inner Loop Header: Depth=1
	s_wait_loadcnt 0x7
	ds_store_b128 v34, v[30:33]
	s_wait_loadcnt 0x6
	ds_store_b128 v35, v[26:29]
	;; [unrolled: 2-line block ×8, first 2 shown]
	s_wait_dscnt 0x0
	s_barrier_signal -1
	s_barrier_wait -1
	ds_load_b128 v[30:33], v0
	ds_load_b128 v[26:29], v0 offset:16
	ds_load_b128 v[6:9], v0 offset:32
	;; [unrolled: 1-line block ×7, first 2 shown]
	s_add_co_i32 s4, s4, -1
	s_wait_dscnt 0x0
	s_cmp_lg_u32 s4, 0
	s_barrier_signal -1
	s_barrier_wait -1
	s_cbranch_scc1 .LBB149_1
; %bb.2:
	s_add_nc_u64 s[0:1], s[0:1], s[2:3]
	s_clause 0x7
	global_store_b128 v1, v[30:33], s[0:1] scale_offset
	global_store_b128 v1, v[26:29], s[0:1] offset:16 scale_offset
	global_store_b128 v1, v[6:9], s[0:1] offset:32 scale_offset
	global_store_b128 v1, v[2:5], s[0:1] offset:48 scale_offset
	global_store_b128 v1, v[22:25], s[0:1] offset:64 scale_offset
	global_store_b128 v1, v[18:21], s[0:1] offset:80 scale_offset
	global_store_b128 v1, v[14:17], s[0:1] offset:96 scale_offset
	global_store_b128 v1, v[10:13], s[0:1] offset:112 scale_offset
	s_endpgm
	.section	.rodata,"a",@progbits
	.p2align	6, 0x0
	.amdhsa_kernel _Z6kernelI18scatter_to_blockedN15benchmark_utils11custom_typeIddEELj256ELj8ELj100EEvPKT0_PKjPS4_
		.amdhsa_group_segment_fixed_size 33792
		.amdhsa_private_segment_fixed_size 0
		.amdhsa_kernarg_size 24
		.amdhsa_user_sgpr_count 2
		.amdhsa_user_sgpr_dispatch_ptr 0
		.amdhsa_user_sgpr_queue_ptr 0
		.amdhsa_user_sgpr_kernarg_segment_ptr 1
		.amdhsa_user_sgpr_dispatch_id 0
		.amdhsa_user_sgpr_kernarg_preload_length 0
		.amdhsa_user_sgpr_kernarg_preload_offset 0
		.amdhsa_user_sgpr_private_segment_size 0
		.amdhsa_wavefront_size32 1
		.amdhsa_uses_dynamic_stack 0
		.amdhsa_enable_private_segment 0
		.amdhsa_system_sgpr_workgroup_id_x 1
		.amdhsa_system_sgpr_workgroup_id_y 0
		.amdhsa_system_sgpr_workgroup_id_z 0
		.amdhsa_system_sgpr_workgroup_info 0
		.amdhsa_system_vgpr_workitem_id 0
		.amdhsa_next_free_vgpr 51
		.amdhsa_next_free_sgpr 10
		.amdhsa_named_barrier_count 0
		.amdhsa_reserve_vcc 0
		.amdhsa_float_round_mode_32 0
		.amdhsa_float_round_mode_16_64 0
		.amdhsa_float_denorm_mode_32 3
		.amdhsa_float_denorm_mode_16_64 3
		.amdhsa_fp16_overflow 0
		.amdhsa_memory_ordered 1
		.amdhsa_forward_progress 1
		.amdhsa_inst_pref_size 7
		.amdhsa_round_robin_scheduling 0
		.amdhsa_exception_fp_ieee_invalid_op 0
		.amdhsa_exception_fp_denorm_src 0
		.amdhsa_exception_fp_ieee_div_zero 0
		.amdhsa_exception_fp_ieee_overflow 0
		.amdhsa_exception_fp_ieee_underflow 0
		.amdhsa_exception_fp_ieee_inexact 0
		.amdhsa_exception_int_div_zero 0
	.end_amdhsa_kernel
	.section	.text._Z6kernelI18scatter_to_blockedN15benchmark_utils11custom_typeIddEELj256ELj8ELj100EEvPKT0_PKjPS4_,"axG",@progbits,_Z6kernelI18scatter_to_blockedN15benchmark_utils11custom_typeIddEELj256ELj8ELj100EEvPKT0_PKjPS4_,comdat
.Lfunc_end149:
	.size	_Z6kernelI18scatter_to_blockedN15benchmark_utils11custom_typeIddEELj256ELj8ELj100EEvPKT0_PKjPS4_, .Lfunc_end149-_Z6kernelI18scatter_to_blockedN15benchmark_utils11custom_typeIddEELj256ELj8ELj100EEvPKT0_PKjPS4_
                                        ; -- End function
	.set _Z6kernelI18scatter_to_blockedN15benchmark_utils11custom_typeIddEELj256ELj8ELj100EEvPKT0_PKjPS4_.num_vgpr, 51
	.set _Z6kernelI18scatter_to_blockedN15benchmark_utils11custom_typeIddEELj256ELj8ELj100EEvPKT0_PKjPS4_.num_agpr, 0
	.set _Z6kernelI18scatter_to_blockedN15benchmark_utils11custom_typeIddEELj256ELj8ELj100EEvPKT0_PKjPS4_.numbered_sgpr, 10
	.set _Z6kernelI18scatter_to_blockedN15benchmark_utils11custom_typeIddEELj256ELj8ELj100EEvPKT0_PKjPS4_.num_named_barrier, 0
	.set _Z6kernelI18scatter_to_blockedN15benchmark_utils11custom_typeIddEELj256ELj8ELj100EEvPKT0_PKjPS4_.private_seg_size, 0
	.set _Z6kernelI18scatter_to_blockedN15benchmark_utils11custom_typeIddEELj256ELj8ELj100EEvPKT0_PKjPS4_.uses_vcc, 0
	.set _Z6kernelI18scatter_to_blockedN15benchmark_utils11custom_typeIddEELj256ELj8ELj100EEvPKT0_PKjPS4_.uses_flat_scratch, 0
	.set _Z6kernelI18scatter_to_blockedN15benchmark_utils11custom_typeIddEELj256ELj8ELj100EEvPKT0_PKjPS4_.has_dyn_sized_stack, 0
	.set _Z6kernelI18scatter_to_blockedN15benchmark_utils11custom_typeIddEELj256ELj8ELj100EEvPKT0_PKjPS4_.has_recursion, 0
	.set _Z6kernelI18scatter_to_blockedN15benchmark_utils11custom_typeIddEELj256ELj8ELj100EEvPKT0_PKjPS4_.has_indirect_call, 0
	.section	.AMDGPU.csdata,"",@progbits
; Kernel info:
; codeLenInByte = 816
; TotalNumSgprs: 10
; NumVgprs: 51
; ScratchSize: 0
; MemoryBound: 1
; FloatMode: 240
; IeeeMode: 1
; LDSByteSize: 33792 bytes/workgroup (compile time only)
; SGPRBlocks: 0
; VGPRBlocks: 3
; NumSGPRsForWavesPerEU: 10
; NumVGPRsForWavesPerEU: 51
; NamedBarCnt: 0
; Occupancy: 16
; WaveLimiterHint : 1
; COMPUTE_PGM_RSRC2:SCRATCH_EN: 0
; COMPUTE_PGM_RSRC2:USER_SGPR: 2
; COMPUTE_PGM_RSRC2:TRAP_HANDLER: 0
; COMPUTE_PGM_RSRC2:TGID_X_EN: 1
; COMPUTE_PGM_RSRC2:TGID_Y_EN: 0
; COMPUTE_PGM_RSRC2:TGID_Z_EN: 0
; COMPUTE_PGM_RSRC2:TIDIG_COMP_CNT: 0
	.section	.text._Z6kernelI18scatter_to_stripediLj256ELj1ELj100EEvPKT0_PKjPS1_,"axG",@progbits,_Z6kernelI18scatter_to_stripediLj256ELj1ELj100EEvPKT0_PKjPS1_,comdat
	.protected	_Z6kernelI18scatter_to_stripediLj256ELj1ELj100EEvPKT0_PKjPS1_ ; -- Begin function _Z6kernelI18scatter_to_stripediLj256ELj1ELj100EEvPKT0_PKjPS1_
	.globl	_Z6kernelI18scatter_to_stripediLj256ELj1ELj100EEvPKT0_PKjPS1_
	.p2align	8
	.type	_Z6kernelI18scatter_to_stripediLj256ELj1ELj100EEvPKT0_PKjPS1_,@function
_Z6kernelI18scatter_to_stripediLj256ELj1ELj100EEvPKT0_PKjPS1_: ; @_Z6kernelI18scatter_to_stripediLj256ELj1ELj100EEvPKT0_PKjPS1_
; %bb.0:
	s_load_b128 s[4:7], s[0:1], 0x0
	s_bfe_u32 s2, ttmp6, 0x4000c
	s_and_b32 s3, ttmp6, 15
	s_add_co_i32 s2, s2, 1
	s_getreg_b32 s8, hwreg(HW_REG_IB_STS2, 6, 4)
	s_mul_i32 s2, ttmp9, s2
	s_wait_xcnt 0x0
	s_load_b64 s[0:1], s[0:1], 0x10
	s_add_co_i32 s3, s3, s2
	s_cmp_eq_u32 s8, 0
	v_lshlrev_b32_e32 v3, 2, v0
	s_cselect_b32 s2, ttmp9, s3
	s_mov_b32 s3, 0
	s_lshl_b32 s2, s2, 8
	s_delay_alu instid0(SALU_CYCLE_1)
	s_lshl_b64 s[2:3], s[2:3], 2
	s_wait_kmcnt 0x0
	s_add_nc_u64 s[6:7], s[6:7], s[2:3]
	s_add_nc_u64 s[4:5], s[4:5], s[2:3]
	s_clause 0x1
	global_load_b32 v2, v0, s[6:7] scale_offset
	global_load_b32 v1, v0, s[4:5] scale_offset
	s_wait_xcnt 0x0
	s_movk_i32 s4, 0x64
	s_wait_loadcnt 0x1
	v_lshlrev_b32_e32 v2, 2, v2
.LBB150_1:                              ; =>This Inner Loop Header: Depth=1
	s_wait_loadcnt 0x0
	ds_store_b32 v2, v1
	s_wait_dscnt 0x0
	s_barrier_signal -1
	s_barrier_wait -1
	ds_load_b32 v1, v3
	s_add_co_i32 s4, s4, -1
	s_wait_dscnt 0x0
	s_cmp_lg_u32 s4, 0
	s_barrier_signal -1
	s_barrier_wait -1
	s_cbranch_scc1 .LBB150_1
; %bb.2:
	s_add_nc_u64 s[0:1], s[0:1], s[2:3]
	global_store_b32 v0, v1, s[0:1] scale_offset
	s_endpgm
	.section	.rodata,"a",@progbits
	.p2align	6, 0x0
	.amdhsa_kernel _Z6kernelI18scatter_to_stripediLj256ELj1ELj100EEvPKT0_PKjPS1_
		.amdhsa_group_segment_fixed_size 1024
		.amdhsa_private_segment_fixed_size 0
		.amdhsa_kernarg_size 24
		.amdhsa_user_sgpr_count 2
		.amdhsa_user_sgpr_dispatch_ptr 0
		.amdhsa_user_sgpr_queue_ptr 0
		.amdhsa_user_sgpr_kernarg_segment_ptr 1
		.amdhsa_user_sgpr_dispatch_id 0
		.amdhsa_user_sgpr_kernarg_preload_length 0
		.amdhsa_user_sgpr_kernarg_preload_offset 0
		.amdhsa_user_sgpr_private_segment_size 0
		.amdhsa_wavefront_size32 1
		.amdhsa_uses_dynamic_stack 0
		.amdhsa_enable_private_segment 0
		.amdhsa_system_sgpr_workgroup_id_x 1
		.amdhsa_system_sgpr_workgroup_id_y 0
		.amdhsa_system_sgpr_workgroup_id_z 0
		.amdhsa_system_sgpr_workgroup_info 0
		.amdhsa_system_vgpr_workitem_id 0
		.amdhsa_next_free_vgpr 4
		.amdhsa_next_free_sgpr 9
		.amdhsa_named_barrier_count 0
		.amdhsa_reserve_vcc 0
		.amdhsa_float_round_mode_32 0
		.amdhsa_float_round_mode_16_64 0
		.amdhsa_float_denorm_mode_32 3
		.amdhsa_float_denorm_mode_16_64 3
		.amdhsa_fp16_overflow 0
		.amdhsa_memory_ordered 1
		.amdhsa_forward_progress 1
		.amdhsa_inst_pref_size 2
		.amdhsa_round_robin_scheduling 0
		.amdhsa_exception_fp_ieee_invalid_op 0
		.amdhsa_exception_fp_denorm_src 0
		.amdhsa_exception_fp_ieee_div_zero 0
		.amdhsa_exception_fp_ieee_overflow 0
		.amdhsa_exception_fp_ieee_underflow 0
		.amdhsa_exception_fp_ieee_inexact 0
		.amdhsa_exception_int_div_zero 0
	.end_amdhsa_kernel
	.section	.text._Z6kernelI18scatter_to_stripediLj256ELj1ELj100EEvPKT0_PKjPS1_,"axG",@progbits,_Z6kernelI18scatter_to_stripediLj256ELj1ELj100EEvPKT0_PKjPS1_,comdat
.Lfunc_end150:
	.size	_Z6kernelI18scatter_to_stripediLj256ELj1ELj100EEvPKT0_PKjPS1_, .Lfunc_end150-_Z6kernelI18scatter_to_stripediLj256ELj1ELj100EEvPKT0_PKjPS1_
                                        ; -- End function
	.set _Z6kernelI18scatter_to_stripediLj256ELj1ELj100EEvPKT0_PKjPS1_.num_vgpr, 4
	.set _Z6kernelI18scatter_to_stripediLj256ELj1ELj100EEvPKT0_PKjPS1_.num_agpr, 0
	.set _Z6kernelI18scatter_to_stripediLj256ELj1ELj100EEvPKT0_PKjPS1_.numbered_sgpr, 9
	.set _Z6kernelI18scatter_to_stripediLj256ELj1ELj100EEvPKT0_PKjPS1_.num_named_barrier, 0
	.set _Z6kernelI18scatter_to_stripediLj256ELj1ELj100EEvPKT0_PKjPS1_.private_seg_size, 0
	.set _Z6kernelI18scatter_to_stripediLj256ELj1ELj100EEvPKT0_PKjPS1_.uses_vcc, 0
	.set _Z6kernelI18scatter_to_stripediLj256ELj1ELj100EEvPKT0_PKjPS1_.uses_flat_scratch, 0
	.set _Z6kernelI18scatter_to_stripediLj256ELj1ELj100EEvPKT0_PKjPS1_.has_dyn_sized_stack, 0
	.set _Z6kernelI18scatter_to_stripediLj256ELj1ELj100EEvPKT0_PKjPS1_.has_recursion, 0
	.set _Z6kernelI18scatter_to_stripediLj256ELj1ELj100EEvPKT0_PKjPS1_.has_indirect_call, 0
	.section	.AMDGPU.csdata,"",@progbits
; Kernel info:
; codeLenInByte = 208
; TotalNumSgprs: 9
; NumVgprs: 4
; ScratchSize: 0
; MemoryBound: 0
; FloatMode: 240
; IeeeMode: 1
; LDSByteSize: 1024 bytes/workgroup (compile time only)
; SGPRBlocks: 0
; VGPRBlocks: 0
; NumSGPRsForWavesPerEU: 9
; NumVGPRsForWavesPerEU: 4
; NamedBarCnt: 0
; Occupancy: 16
; WaveLimiterHint : 0
; COMPUTE_PGM_RSRC2:SCRATCH_EN: 0
; COMPUTE_PGM_RSRC2:USER_SGPR: 2
; COMPUTE_PGM_RSRC2:TRAP_HANDLER: 0
; COMPUTE_PGM_RSRC2:TGID_X_EN: 1
; COMPUTE_PGM_RSRC2:TGID_Y_EN: 0
; COMPUTE_PGM_RSRC2:TGID_Z_EN: 0
; COMPUTE_PGM_RSRC2:TIDIG_COMP_CNT: 0
	.section	.text._Z6kernelI18scatter_to_stripediLj256ELj2ELj100EEvPKT0_PKjPS1_,"axG",@progbits,_Z6kernelI18scatter_to_stripediLj256ELj2ELj100EEvPKT0_PKjPS1_,comdat
	.protected	_Z6kernelI18scatter_to_stripediLj256ELj2ELj100EEvPKT0_PKjPS1_ ; -- Begin function _Z6kernelI18scatter_to_stripediLj256ELj2ELj100EEvPKT0_PKjPS1_
	.globl	_Z6kernelI18scatter_to_stripediLj256ELj2ELj100EEvPKT0_PKjPS1_
	.p2align	8
	.type	_Z6kernelI18scatter_to_stripediLj256ELj2ELj100EEvPKT0_PKjPS1_,@function
_Z6kernelI18scatter_to_stripediLj256ELj2ELj100EEvPKT0_PKjPS1_: ; @_Z6kernelI18scatter_to_stripediLj256ELj2ELj100EEvPKT0_PKjPS1_
; %bb.0:
	s_load_b128 s[4:7], s[0:1], 0x0
	s_bfe_u32 s2, ttmp6, 0x4000c
	s_and_b32 s3, ttmp6, 15
	s_add_co_i32 s2, s2, 1
	s_getreg_b32 s8, hwreg(HW_REG_IB_STS2, 6, 4)
	s_mul_i32 s2, ttmp9, s2
	s_wait_xcnt 0x0
	s_load_b64 s[0:1], s[0:1], 0x10
	s_add_co_i32 s3, s3, s2
	s_cmp_eq_u32 s8, 0
	v_lshlrev_b32_e32 v5, 2, v0
	s_cselect_b32 s2, ttmp9, s3
	s_mov_b32 s3, 0
	s_lshl_b32 s2, s2, 9
	s_delay_alu instid0(SALU_CYCLE_1)
	s_lshl_b64 s[2:3], s[2:3], 2
	s_wait_kmcnt 0x0
	s_add_nc_u64 s[6:7], s[6:7], s[2:3]
	s_add_nc_u64 s[4:5], s[4:5], s[2:3]
	s_clause 0x3
	global_load_b32 v1, v0, s[6:7] scale_offset
	global_load_b32 v4, v0, s[6:7] offset:1024 scale_offset
	global_load_b32 v2, v0, s[4:5] scale_offset
	global_load_b32 v3, v0, s[4:5] offset:1024 scale_offset
	s_wait_xcnt 0x0
	s_movk_i32 s4, 0x64
	s_wait_loadcnt 0x2
	v_dual_lshlrev_b32 v1, 2, v1 :: v_dual_lshlrev_b32 v4, 2, v4
.LBB151_1:                              ; =>This Inner Loop Header: Depth=1
	s_wait_loadcnt 0x1
	ds_store_b32 v1, v2
	s_wait_loadcnt 0x0
	ds_store_b32 v4, v3
	s_wait_dscnt 0x0
	s_barrier_signal -1
	s_barrier_wait -1
	ds_load_2addr_stride64_b32 v[2:3], v5 offset1:4
	s_add_co_i32 s4, s4, -1
	s_wait_dscnt 0x0
	s_cmp_lg_u32 s4, 0
	s_barrier_signal -1
	s_barrier_wait -1
	s_cbranch_scc1 .LBB151_1
; %bb.2:
	s_add_nc_u64 s[0:1], s[0:1], s[2:3]
	s_clause 0x1
	global_store_b32 v0, v2, s[0:1] scale_offset
	global_store_b32 v0, v3, s[0:1] offset:1024 scale_offset
	s_endpgm
	.section	.rodata,"a",@progbits
	.p2align	6, 0x0
	.amdhsa_kernel _Z6kernelI18scatter_to_stripediLj256ELj2ELj100EEvPKT0_PKjPS1_
		.amdhsa_group_segment_fixed_size 2112
		.amdhsa_private_segment_fixed_size 0
		.amdhsa_kernarg_size 24
		.amdhsa_user_sgpr_count 2
		.amdhsa_user_sgpr_dispatch_ptr 0
		.amdhsa_user_sgpr_queue_ptr 0
		.amdhsa_user_sgpr_kernarg_segment_ptr 1
		.amdhsa_user_sgpr_dispatch_id 0
		.amdhsa_user_sgpr_kernarg_preload_length 0
		.amdhsa_user_sgpr_kernarg_preload_offset 0
		.amdhsa_user_sgpr_private_segment_size 0
		.amdhsa_wavefront_size32 1
		.amdhsa_uses_dynamic_stack 0
		.amdhsa_enable_private_segment 0
		.amdhsa_system_sgpr_workgroup_id_x 1
		.amdhsa_system_sgpr_workgroup_id_y 0
		.amdhsa_system_sgpr_workgroup_id_z 0
		.amdhsa_system_sgpr_workgroup_info 0
		.amdhsa_system_vgpr_workitem_id 0
		.amdhsa_next_free_vgpr 6
		.amdhsa_next_free_sgpr 9
		.amdhsa_named_barrier_count 0
		.amdhsa_reserve_vcc 0
		.amdhsa_float_round_mode_32 0
		.amdhsa_float_round_mode_16_64 0
		.amdhsa_float_denorm_mode_32 3
		.amdhsa_float_denorm_mode_16_64 3
		.amdhsa_fp16_overflow 0
		.amdhsa_memory_ordered 1
		.amdhsa_forward_progress 1
		.amdhsa_inst_pref_size 3
		.amdhsa_round_robin_scheduling 0
		.amdhsa_exception_fp_ieee_invalid_op 0
		.amdhsa_exception_fp_denorm_src 0
		.amdhsa_exception_fp_ieee_div_zero 0
		.amdhsa_exception_fp_ieee_overflow 0
		.amdhsa_exception_fp_ieee_underflow 0
		.amdhsa_exception_fp_ieee_inexact 0
		.amdhsa_exception_int_div_zero 0
	.end_amdhsa_kernel
	.section	.text._Z6kernelI18scatter_to_stripediLj256ELj2ELj100EEvPKT0_PKjPS1_,"axG",@progbits,_Z6kernelI18scatter_to_stripediLj256ELj2ELj100EEvPKT0_PKjPS1_,comdat
.Lfunc_end151:
	.size	_Z6kernelI18scatter_to_stripediLj256ELj2ELj100EEvPKT0_PKjPS1_, .Lfunc_end151-_Z6kernelI18scatter_to_stripediLj256ELj2ELj100EEvPKT0_PKjPS1_
                                        ; -- End function
	.set _Z6kernelI18scatter_to_stripediLj256ELj2ELj100EEvPKT0_PKjPS1_.num_vgpr, 6
	.set _Z6kernelI18scatter_to_stripediLj256ELj2ELj100EEvPKT0_PKjPS1_.num_agpr, 0
	.set _Z6kernelI18scatter_to_stripediLj256ELj2ELj100EEvPKT0_PKjPS1_.numbered_sgpr, 9
	.set _Z6kernelI18scatter_to_stripediLj256ELj2ELj100EEvPKT0_PKjPS1_.num_named_barrier, 0
	.set _Z6kernelI18scatter_to_stripediLj256ELj2ELj100EEvPKT0_PKjPS1_.private_seg_size, 0
	.set _Z6kernelI18scatter_to_stripediLj256ELj2ELj100EEvPKT0_PKjPS1_.uses_vcc, 0
	.set _Z6kernelI18scatter_to_stripediLj256ELj2ELj100EEvPKT0_PKjPS1_.uses_flat_scratch, 0
	.set _Z6kernelI18scatter_to_stripediLj256ELj2ELj100EEvPKT0_PKjPS1_.has_dyn_sized_stack, 0
	.set _Z6kernelI18scatter_to_stripediLj256ELj2ELj100EEvPKT0_PKjPS1_.has_recursion, 0
	.set _Z6kernelI18scatter_to_stripediLj256ELj2ELj100EEvPKT0_PKjPS1_.has_indirect_call, 0
	.section	.AMDGPU.csdata,"",@progbits
; Kernel info:
; codeLenInByte = 268
; TotalNumSgprs: 9
; NumVgprs: 6
; ScratchSize: 0
; MemoryBound: 0
; FloatMode: 240
; IeeeMode: 1
; LDSByteSize: 2112 bytes/workgroup (compile time only)
; SGPRBlocks: 0
; VGPRBlocks: 0
; NumSGPRsForWavesPerEU: 9
; NumVGPRsForWavesPerEU: 6
; NamedBarCnt: 0
; Occupancy: 16
; WaveLimiterHint : 1
; COMPUTE_PGM_RSRC2:SCRATCH_EN: 0
; COMPUTE_PGM_RSRC2:USER_SGPR: 2
; COMPUTE_PGM_RSRC2:TRAP_HANDLER: 0
; COMPUTE_PGM_RSRC2:TGID_X_EN: 1
; COMPUTE_PGM_RSRC2:TGID_Y_EN: 0
; COMPUTE_PGM_RSRC2:TGID_Z_EN: 0
; COMPUTE_PGM_RSRC2:TIDIG_COMP_CNT: 0
	.section	.text._Z6kernelI18scatter_to_stripediLj256ELj3ELj100EEvPKT0_PKjPS1_,"axG",@progbits,_Z6kernelI18scatter_to_stripediLj256ELj3ELj100EEvPKT0_PKjPS1_,comdat
	.protected	_Z6kernelI18scatter_to_stripediLj256ELj3ELj100EEvPKT0_PKjPS1_ ; -- Begin function _Z6kernelI18scatter_to_stripediLj256ELj3ELj100EEvPKT0_PKjPS1_
	.globl	_Z6kernelI18scatter_to_stripediLj256ELj3ELj100EEvPKT0_PKjPS1_
	.p2align	8
	.type	_Z6kernelI18scatter_to_stripediLj256ELj3ELj100EEvPKT0_PKjPS1_,@function
_Z6kernelI18scatter_to_stripediLj256ELj3ELj100EEvPKT0_PKjPS1_: ; @_Z6kernelI18scatter_to_stripediLj256ELj3ELj100EEvPKT0_PKjPS1_
; %bb.0:
	s_load_b128 s[4:7], s[0:1], 0x0
	s_bfe_u32 s2, ttmp6, 0x4000c
	s_and_b32 s3, ttmp6, 15
	s_add_co_i32 s2, s2, 1
	s_getreg_b32 s8, hwreg(HW_REG_IB_STS2, 6, 4)
	s_mul_i32 s2, ttmp9, s2
	s_wait_xcnt 0x0
	s_load_b64 s[0:1], s[0:1], 0x10
	s_add_co_i32 s3, s3, s2
	s_cmp_eq_u32 s8, 0
	v_lshlrev_b32_e32 v7, 2, v0
	s_cselect_b32 s2, ttmp9, s3
	s_mov_b32 s3, 0
	s_mulk_i32 s2, 0x300
	s_delay_alu instid0(SALU_CYCLE_1)
	s_lshl_b64 s[2:3], s[2:3], 2
	s_wait_kmcnt 0x0
	s_add_nc_u64 s[6:7], s[6:7], s[2:3]
	s_clause 0x2
	global_load_b32 v4, v0, s[6:7] scale_offset
	global_load_b32 v5, v0, s[6:7] offset:1024 scale_offset
	global_load_b32 v6, v0, s[6:7] offset:2048 scale_offset
	s_add_nc_u64 s[4:5], s[4:5], s[2:3]
	s_clause 0x2
	global_load_b32 v2, v0, s[4:5] scale_offset
	global_load_b32 v3, v0, s[4:5] offset:1024 scale_offset
	global_load_b32 v1, v0, s[4:5] offset:2048 scale_offset
	s_wait_xcnt 0x0
	s_movk_i32 s4, 0x64
	s_wait_loadcnt 0x4
	v_dual_lshlrev_b32 v4, 2, v4 :: v_dual_lshlrev_b32 v5, 2, v5
	s_wait_loadcnt 0x3
	v_lshlrev_b32_e32 v6, 2, v6
.LBB152_1:                              ; =>This Inner Loop Header: Depth=1
	s_wait_loadcnt 0x2
	ds_store_b32 v4, v2
	s_wait_loadcnt 0x1
	ds_store_b32 v5, v3
	;; [unrolled: 2-line block ×3, first 2 shown]
	s_wait_dscnt 0x0
	s_barrier_signal -1
	s_barrier_wait -1
	ds_load_2addr_stride64_b32 v[2:3], v7 offset1:4
	ds_load_b32 v1, v7 offset:2048
	s_add_co_i32 s4, s4, -1
	s_wait_dscnt 0x0
	s_cmp_lg_u32 s4, 0
	s_barrier_signal -1
	s_barrier_wait -1
	s_cbranch_scc1 .LBB152_1
; %bb.2:
	s_add_nc_u64 s[0:1], s[0:1], s[2:3]
	s_clause 0x2
	global_store_b32 v0, v2, s[0:1] scale_offset
	global_store_b32 v0, v3, s[0:1] offset:1024 scale_offset
	global_store_b32 v0, v1, s[0:1] offset:2048 scale_offset
	s_endpgm
	.section	.rodata,"a",@progbits
	.p2align	6, 0x0
	.amdhsa_kernel _Z6kernelI18scatter_to_stripediLj256ELj3ELj100EEvPKT0_PKjPS1_
		.amdhsa_group_segment_fixed_size 3072
		.amdhsa_private_segment_fixed_size 0
		.amdhsa_kernarg_size 24
		.amdhsa_user_sgpr_count 2
		.amdhsa_user_sgpr_dispatch_ptr 0
		.amdhsa_user_sgpr_queue_ptr 0
		.amdhsa_user_sgpr_kernarg_segment_ptr 1
		.amdhsa_user_sgpr_dispatch_id 0
		.amdhsa_user_sgpr_kernarg_preload_length 0
		.amdhsa_user_sgpr_kernarg_preload_offset 0
		.amdhsa_user_sgpr_private_segment_size 0
		.amdhsa_wavefront_size32 1
		.amdhsa_uses_dynamic_stack 0
		.amdhsa_enable_private_segment 0
		.amdhsa_system_sgpr_workgroup_id_x 1
		.amdhsa_system_sgpr_workgroup_id_y 0
		.amdhsa_system_sgpr_workgroup_id_z 0
		.amdhsa_system_sgpr_workgroup_info 0
		.amdhsa_system_vgpr_workitem_id 0
		.amdhsa_next_free_vgpr 8
		.amdhsa_next_free_sgpr 9
		.amdhsa_named_barrier_count 0
		.amdhsa_reserve_vcc 0
		.amdhsa_float_round_mode_32 0
		.amdhsa_float_round_mode_16_64 0
		.amdhsa_float_denorm_mode_32 3
		.amdhsa_float_denorm_mode_16_64 3
		.amdhsa_fp16_overflow 0
		.amdhsa_memory_ordered 1
		.amdhsa_forward_progress 1
		.amdhsa_inst_pref_size 3
		.amdhsa_round_robin_scheduling 0
		.amdhsa_exception_fp_ieee_invalid_op 0
		.amdhsa_exception_fp_denorm_src 0
		.amdhsa_exception_fp_ieee_div_zero 0
		.amdhsa_exception_fp_ieee_overflow 0
		.amdhsa_exception_fp_ieee_underflow 0
		.amdhsa_exception_fp_ieee_inexact 0
		.amdhsa_exception_int_div_zero 0
	.end_amdhsa_kernel
	.section	.text._Z6kernelI18scatter_to_stripediLj256ELj3ELj100EEvPKT0_PKjPS1_,"axG",@progbits,_Z6kernelI18scatter_to_stripediLj256ELj3ELj100EEvPKT0_PKjPS1_,comdat
.Lfunc_end152:
	.size	_Z6kernelI18scatter_to_stripediLj256ELj3ELj100EEvPKT0_PKjPS1_, .Lfunc_end152-_Z6kernelI18scatter_to_stripediLj256ELj3ELj100EEvPKT0_PKjPS1_
                                        ; -- End function
	.set _Z6kernelI18scatter_to_stripediLj256ELj3ELj100EEvPKT0_PKjPS1_.num_vgpr, 8
	.set _Z6kernelI18scatter_to_stripediLj256ELj3ELj100EEvPKT0_PKjPS1_.num_agpr, 0
	.set _Z6kernelI18scatter_to_stripediLj256ELj3ELj100EEvPKT0_PKjPS1_.numbered_sgpr, 9
	.set _Z6kernelI18scatter_to_stripediLj256ELj3ELj100EEvPKT0_PKjPS1_.num_named_barrier, 0
	.set _Z6kernelI18scatter_to_stripediLj256ELj3ELj100EEvPKT0_PKjPS1_.private_seg_size, 0
	.set _Z6kernelI18scatter_to_stripediLj256ELj3ELj100EEvPKT0_PKjPS1_.uses_vcc, 0
	.set _Z6kernelI18scatter_to_stripediLj256ELj3ELj100EEvPKT0_PKjPS1_.uses_flat_scratch, 0
	.set _Z6kernelI18scatter_to_stripediLj256ELj3ELj100EEvPKT0_PKjPS1_.has_dyn_sized_stack, 0
	.set _Z6kernelI18scatter_to_stripediLj256ELj3ELj100EEvPKT0_PKjPS1_.has_recursion, 0
	.set _Z6kernelI18scatter_to_stripediLj256ELj3ELj100EEvPKT0_PKjPS1_.has_indirect_call, 0
	.section	.AMDGPU.csdata,"",@progbits
; Kernel info:
; codeLenInByte = 336
; TotalNumSgprs: 9
; NumVgprs: 8
; ScratchSize: 0
; MemoryBound: 0
; FloatMode: 240
; IeeeMode: 1
; LDSByteSize: 3072 bytes/workgroup (compile time only)
; SGPRBlocks: 0
; VGPRBlocks: 0
; NumSGPRsForWavesPerEU: 9
; NumVGPRsForWavesPerEU: 8
; NamedBarCnt: 0
; Occupancy: 16
; WaveLimiterHint : 1
; COMPUTE_PGM_RSRC2:SCRATCH_EN: 0
; COMPUTE_PGM_RSRC2:USER_SGPR: 2
; COMPUTE_PGM_RSRC2:TRAP_HANDLER: 0
; COMPUTE_PGM_RSRC2:TGID_X_EN: 1
; COMPUTE_PGM_RSRC2:TGID_Y_EN: 0
; COMPUTE_PGM_RSRC2:TGID_Z_EN: 0
; COMPUTE_PGM_RSRC2:TIDIG_COMP_CNT: 0
	.section	.text._Z6kernelI18scatter_to_stripediLj256ELj4ELj100EEvPKT0_PKjPS1_,"axG",@progbits,_Z6kernelI18scatter_to_stripediLj256ELj4ELj100EEvPKT0_PKjPS1_,comdat
	.protected	_Z6kernelI18scatter_to_stripediLj256ELj4ELj100EEvPKT0_PKjPS1_ ; -- Begin function _Z6kernelI18scatter_to_stripediLj256ELj4ELj100EEvPKT0_PKjPS1_
	.globl	_Z6kernelI18scatter_to_stripediLj256ELj4ELj100EEvPKT0_PKjPS1_
	.p2align	8
	.type	_Z6kernelI18scatter_to_stripediLj256ELj4ELj100EEvPKT0_PKjPS1_,@function
_Z6kernelI18scatter_to_stripediLj256ELj4ELj100EEvPKT0_PKjPS1_: ; @_Z6kernelI18scatter_to_stripediLj256ELj4ELj100EEvPKT0_PKjPS1_
; %bb.0:
	s_load_b128 s[4:7], s[0:1], 0x0
	s_bfe_u32 s2, ttmp6, 0x4000c
	s_and_b32 s3, ttmp6, 15
	s_add_co_i32 s2, s2, 1
	s_getreg_b32 s8, hwreg(HW_REG_IB_STS2, 6, 4)
	s_mul_i32 s2, ttmp9, s2
	s_wait_xcnt 0x0
	s_load_b64 s[0:1], s[0:1], 0x10
	s_add_co_i32 s3, s3, s2
	s_cmp_eq_u32 s8, 0
	v_lshlrev_b32_e32 v9, 2, v0
	s_cselect_b32 s2, ttmp9, s3
	s_mov_b32 s3, 0
	s_lshl_b32 s2, s2, 10
	s_delay_alu instid0(SALU_CYCLE_1)
	s_lshl_b64 s[2:3], s[2:3], 2
	s_wait_kmcnt 0x0
	s_add_nc_u64 s[6:7], s[6:7], s[2:3]
	s_add_nc_u64 s[4:5], s[4:5], s[2:3]
	s_clause 0x7
	global_load_b32 v1, v0, s[6:7] scale_offset
	global_load_b32 v6, v0, s[6:7] offset:1024 scale_offset
	global_load_b32 v7, v0, s[6:7] offset:2048 scale_offset
	;; [unrolled: 1-line block ×3, first 2 shown]
	global_load_b32 v2, v0, s[4:5] scale_offset
	global_load_b32 v3, v0, s[4:5] offset:1024 scale_offset
	global_load_b32 v4, v0, s[4:5] offset:2048 scale_offset
	;; [unrolled: 1-line block ×3, first 2 shown]
	s_wait_xcnt 0x0
	s_movk_i32 s4, 0x64
	s_wait_loadcnt 0x6
	v_dual_lshlrev_b32 v1, 2, v1 :: v_dual_lshlrev_b32 v6, 2, v6
	s_wait_loadcnt 0x4
	v_dual_lshlrev_b32 v7, 2, v7 :: v_dual_lshlrev_b32 v8, 2, v8
.LBB153_1:                              ; =>This Inner Loop Header: Depth=1
	s_wait_loadcnt 0x3
	ds_store_b32 v1, v2
	s_wait_loadcnt 0x2
	ds_store_b32 v6, v3
	;; [unrolled: 2-line block ×4, first 2 shown]
	s_wait_dscnt 0x0
	s_barrier_signal -1
	s_barrier_wait -1
	ds_load_2addr_stride64_b32 v[2:3], v9 offset1:4
	ds_load_2addr_stride64_b32 v[4:5], v9 offset0:8 offset1:12
	s_add_co_i32 s4, s4, -1
	s_wait_dscnt 0x0
	s_cmp_lg_u32 s4, 0
	s_barrier_signal -1
	s_barrier_wait -1
	s_cbranch_scc1 .LBB153_1
; %bb.2:
	s_add_nc_u64 s[0:1], s[0:1], s[2:3]
	s_clause 0x3
	global_store_b32 v0, v2, s[0:1] scale_offset
	global_store_b32 v0, v3, s[0:1] offset:1024 scale_offset
	global_store_b32 v0, v4, s[0:1] offset:2048 scale_offset
	;; [unrolled: 1-line block ×3, first 2 shown]
	s_endpgm
	.section	.rodata,"a",@progbits
	.p2align	6, 0x0
	.amdhsa_kernel _Z6kernelI18scatter_to_stripediLj256ELj4ELj100EEvPKT0_PKjPS1_
		.amdhsa_group_segment_fixed_size 4224
		.amdhsa_private_segment_fixed_size 0
		.amdhsa_kernarg_size 24
		.amdhsa_user_sgpr_count 2
		.amdhsa_user_sgpr_dispatch_ptr 0
		.amdhsa_user_sgpr_queue_ptr 0
		.amdhsa_user_sgpr_kernarg_segment_ptr 1
		.amdhsa_user_sgpr_dispatch_id 0
		.amdhsa_user_sgpr_kernarg_preload_length 0
		.amdhsa_user_sgpr_kernarg_preload_offset 0
		.amdhsa_user_sgpr_private_segment_size 0
		.amdhsa_wavefront_size32 1
		.amdhsa_uses_dynamic_stack 0
		.amdhsa_enable_private_segment 0
		.amdhsa_system_sgpr_workgroup_id_x 1
		.amdhsa_system_sgpr_workgroup_id_y 0
		.amdhsa_system_sgpr_workgroup_id_z 0
		.amdhsa_system_sgpr_workgroup_info 0
		.amdhsa_system_vgpr_workitem_id 0
		.amdhsa_next_free_vgpr 10
		.amdhsa_next_free_sgpr 9
		.amdhsa_named_barrier_count 0
		.amdhsa_reserve_vcc 0
		.amdhsa_float_round_mode_32 0
		.amdhsa_float_round_mode_16_64 0
		.amdhsa_float_denorm_mode_32 3
		.amdhsa_float_denorm_mode_16_64 3
		.amdhsa_fp16_overflow 0
		.amdhsa_memory_ordered 1
		.amdhsa_forward_progress 1
		.amdhsa_inst_pref_size 4
		.amdhsa_round_robin_scheduling 0
		.amdhsa_exception_fp_ieee_invalid_op 0
		.amdhsa_exception_fp_denorm_src 0
		.amdhsa_exception_fp_ieee_div_zero 0
		.amdhsa_exception_fp_ieee_overflow 0
		.amdhsa_exception_fp_ieee_underflow 0
		.amdhsa_exception_fp_ieee_inexact 0
		.amdhsa_exception_int_div_zero 0
	.end_amdhsa_kernel
	.section	.text._Z6kernelI18scatter_to_stripediLj256ELj4ELj100EEvPKT0_PKjPS1_,"axG",@progbits,_Z6kernelI18scatter_to_stripediLj256ELj4ELj100EEvPKT0_PKjPS1_,comdat
.Lfunc_end153:
	.size	_Z6kernelI18scatter_to_stripediLj256ELj4ELj100EEvPKT0_PKjPS1_, .Lfunc_end153-_Z6kernelI18scatter_to_stripediLj256ELj4ELj100EEvPKT0_PKjPS1_
                                        ; -- End function
	.set _Z6kernelI18scatter_to_stripediLj256ELj4ELj100EEvPKT0_PKjPS1_.num_vgpr, 10
	.set _Z6kernelI18scatter_to_stripediLj256ELj4ELj100EEvPKT0_PKjPS1_.num_agpr, 0
	.set _Z6kernelI18scatter_to_stripediLj256ELj4ELj100EEvPKT0_PKjPS1_.numbered_sgpr, 9
	.set _Z6kernelI18scatter_to_stripediLj256ELj4ELj100EEvPKT0_PKjPS1_.num_named_barrier, 0
	.set _Z6kernelI18scatter_to_stripediLj256ELj4ELj100EEvPKT0_PKjPS1_.private_seg_size, 0
	.set _Z6kernelI18scatter_to_stripediLj256ELj4ELj100EEvPKT0_PKjPS1_.uses_vcc, 0
	.set _Z6kernelI18scatter_to_stripediLj256ELj4ELj100EEvPKT0_PKjPS1_.uses_flat_scratch, 0
	.set _Z6kernelI18scatter_to_stripediLj256ELj4ELj100EEvPKT0_PKjPS1_.has_dyn_sized_stack, 0
	.set _Z6kernelI18scatter_to_stripediLj256ELj4ELj100EEvPKT0_PKjPS1_.has_recursion, 0
	.set _Z6kernelI18scatter_to_stripediLj256ELj4ELj100EEvPKT0_PKjPS1_.has_indirect_call, 0
	.section	.AMDGPU.csdata,"",@progbits
; Kernel info:
; codeLenInByte = 388
; TotalNumSgprs: 9
; NumVgprs: 10
; ScratchSize: 0
; MemoryBound: 0
; FloatMode: 240
; IeeeMode: 1
; LDSByteSize: 4224 bytes/workgroup (compile time only)
; SGPRBlocks: 0
; VGPRBlocks: 0
; NumSGPRsForWavesPerEU: 9
; NumVGPRsForWavesPerEU: 10
; NamedBarCnt: 0
; Occupancy: 16
; WaveLimiterHint : 1
; COMPUTE_PGM_RSRC2:SCRATCH_EN: 0
; COMPUTE_PGM_RSRC2:USER_SGPR: 2
; COMPUTE_PGM_RSRC2:TRAP_HANDLER: 0
; COMPUTE_PGM_RSRC2:TGID_X_EN: 1
; COMPUTE_PGM_RSRC2:TGID_Y_EN: 0
; COMPUTE_PGM_RSRC2:TGID_Z_EN: 0
; COMPUTE_PGM_RSRC2:TIDIG_COMP_CNT: 0
	.section	.text._Z6kernelI18scatter_to_stripediLj256ELj7ELj100EEvPKT0_PKjPS1_,"axG",@progbits,_Z6kernelI18scatter_to_stripediLj256ELj7ELj100EEvPKT0_PKjPS1_,comdat
	.protected	_Z6kernelI18scatter_to_stripediLj256ELj7ELj100EEvPKT0_PKjPS1_ ; -- Begin function _Z6kernelI18scatter_to_stripediLj256ELj7ELj100EEvPKT0_PKjPS1_
	.globl	_Z6kernelI18scatter_to_stripediLj256ELj7ELj100EEvPKT0_PKjPS1_
	.p2align	8
	.type	_Z6kernelI18scatter_to_stripediLj256ELj7ELj100EEvPKT0_PKjPS1_,@function
_Z6kernelI18scatter_to_stripediLj256ELj7ELj100EEvPKT0_PKjPS1_: ; @_Z6kernelI18scatter_to_stripediLj256ELj7ELj100EEvPKT0_PKjPS1_
; %bb.0:
	s_load_b128 s[4:7], s[0:1], 0x0
	s_bfe_u32 s2, ttmp6, 0x4000c
	s_and_b32 s3, ttmp6, 15
	s_add_co_i32 s2, s2, 1
	s_getreg_b32 s8, hwreg(HW_REG_IB_STS2, 6, 4)
	s_mul_i32 s2, ttmp9, s2
	s_wait_xcnt 0x0
	s_load_b64 s[0:1], s[0:1], 0x10
	s_add_co_i32 s3, s3, s2
	s_cmp_eq_u32 s8, 0
	v_lshlrev_b32_e32 v15, 2, v0
	s_cselect_b32 s2, ttmp9, s3
	s_mov_b32 s3, 0
	s_mulk_i32 s2, 0x700
	s_delay_alu instid0(SALU_CYCLE_1)
	s_lshl_b64 s[2:3], s[2:3], 2
	s_wait_kmcnt 0x0
	s_add_nc_u64 s[6:7], s[6:7], s[2:3]
	s_add_nc_u64 s[4:5], s[4:5], s[2:3]
	s_clause 0xd
	global_load_b32 v1, v0, s[6:7] scale_offset
	global_load_b32 v9, v0, s[6:7] offset:1024 scale_offset
	global_load_b32 v10, v0, s[6:7] offset:2048 scale_offset
	;; [unrolled: 1-line block ×6, first 2 shown]
	global_load_b32 v2, v0, s[4:5] scale_offset
	global_load_b32 v3, v0, s[4:5] offset:1024 scale_offset
	global_load_b32 v4, v0, s[4:5] offset:2048 scale_offset
	;; [unrolled: 1-line block ×6, first 2 shown]
	s_wait_xcnt 0x0
	s_movk_i32 s4, 0x64
	s_wait_loadcnt 0xd
	v_lshlrev_b32_e32 v1, 2, v1
	s_wait_loadcnt 0xb
	v_dual_lshlrev_b32 v9, 2, v9 :: v_dual_lshlrev_b32 v10, 2, v10
	s_wait_loadcnt 0x9
	v_dual_lshlrev_b32 v11, 2, v11 :: v_dual_lshlrev_b32 v12, 2, v12
	;; [unrolled: 2-line block ×3, first 2 shown]
.LBB154_1:                              ; =>This Inner Loop Header: Depth=1
	s_wait_loadcnt 0x6
	ds_store_b32 v1, v2
	s_wait_loadcnt 0x5
	ds_store_b32 v9, v3
	;; [unrolled: 2-line block ×7, first 2 shown]
	s_wait_dscnt 0x0
	s_barrier_signal -1
	s_barrier_wait -1
	ds_load_2addr_stride64_b32 v[2:3], v15 offset1:4
	ds_load_2addr_stride64_b32 v[4:5], v15 offset0:8 offset1:12
	ds_load_2addr_stride64_b32 v[6:7], v15 offset0:16 offset1:20
	ds_load_b32 v8, v15 offset:6144
	s_add_co_i32 s4, s4, -1
	s_wait_dscnt 0x0
	s_cmp_lg_u32 s4, 0
	s_barrier_signal -1
	s_barrier_wait -1
	s_cbranch_scc1 .LBB154_1
; %bb.2:
	s_add_nc_u64 s[0:1], s[0:1], s[2:3]
	s_clause 0x6
	global_store_b32 v0, v2, s[0:1] scale_offset
	global_store_b32 v0, v3, s[0:1] offset:1024 scale_offset
	global_store_b32 v0, v4, s[0:1] offset:2048 scale_offset
	;; [unrolled: 1-line block ×6, first 2 shown]
	s_endpgm
	.section	.rodata,"a",@progbits
	.p2align	6, 0x0
	.amdhsa_kernel _Z6kernelI18scatter_to_stripediLj256ELj7ELj100EEvPKT0_PKjPS1_
		.amdhsa_group_segment_fixed_size 7168
		.amdhsa_private_segment_fixed_size 0
		.amdhsa_kernarg_size 24
		.amdhsa_user_sgpr_count 2
		.amdhsa_user_sgpr_dispatch_ptr 0
		.amdhsa_user_sgpr_queue_ptr 0
		.amdhsa_user_sgpr_kernarg_segment_ptr 1
		.amdhsa_user_sgpr_dispatch_id 0
		.amdhsa_user_sgpr_kernarg_preload_length 0
		.amdhsa_user_sgpr_kernarg_preload_offset 0
		.amdhsa_user_sgpr_private_segment_size 0
		.amdhsa_wavefront_size32 1
		.amdhsa_uses_dynamic_stack 0
		.amdhsa_enable_private_segment 0
		.amdhsa_system_sgpr_workgroup_id_x 1
		.amdhsa_system_sgpr_workgroup_id_y 0
		.amdhsa_system_sgpr_workgroup_id_z 0
		.amdhsa_system_sgpr_workgroup_info 0
		.amdhsa_system_vgpr_workitem_id 0
		.amdhsa_next_free_vgpr 16
		.amdhsa_next_free_sgpr 9
		.amdhsa_named_barrier_count 0
		.amdhsa_reserve_vcc 0
		.amdhsa_float_round_mode_32 0
		.amdhsa_float_round_mode_16_64 0
		.amdhsa_float_denorm_mode_32 3
		.amdhsa_float_denorm_mode_16_64 3
		.amdhsa_fp16_overflow 0
		.amdhsa_memory_ordered 1
		.amdhsa_forward_progress 1
		.amdhsa_inst_pref_size 5
		.amdhsa_round_robin_scheduling 0
		.amdhsa_exception_fp_ieee_invalid_op 0
		.amdhsa_exception_fp_denorm_src 0
		.amdhsa_exception_fp_ieee_div_zero 0
		.amdhsa_exception_fp_ieee_overflow 0
		.amdhsa_exception_fp_ieee_underflow 0
		.amdhsa_exception_fp_ieee_inexact 0
		.amdhsa_exception_int_div_zero 0
	.end_amdhsa_kernel
	.section	.text._Z6kernelI18scatter_to_stripediLj256ELj7ELj100EEvPKT0_PKjPS1_,"axG",@progbits,_Z6kernelI18scatter_to_stripediLj256ELj7ELj100EEvPKT0_PKjPS1_,comdat
.Lfunc_end154:
	.size	_Z6kernelI18scatter_to_stripediLj256ELj7ELj100EEvPKT0_PKjPS1_, .Lfunc_end154-_Z6kernelI18scatter_to_stripediLj256ELj7ELj100EEvPKT0_PKjPS1_
                                        ; -- End function
	.set _Z6kernelI18scatter_to_stripediLj256ELj7ELj100EEvPKT0_PKjPS1_.num_vgpr, 16
	.set _Z6kernelI18scatter_to_stripediLj256ELj7ELj100EEvPKT0_PKjPS1_.num_agpr, 0
	.set _Z6kernelI18scatter_to_stripediLj256ELj7ELj100EEvPKT0_PKjPS1_.numbered_sgpr, 9
	.set _Z6kernelI18scatter_to_stripediLj256ELj7ELj100EEvPKT0_PKjPS1_.num_named_barrier, 0
	.set _Z6kernelI18scatter_to_stripediLj256ELj7ELj100EEvPKT0_PKjPS1_.private_seg_size, 0
	.set _Z6kernelI18scatter_to_stripediLj256ELj7ELj100EEvPKT0_PKjPS1_.uses_vcc, 0
	.set _Z6kernelI18scatter_to_stripediLj256ELj7ELj100EEvPKT0_PKjPS1_.uses_flat_scratch, 0
	.set _Z6kernelI18scatter_to_stripediLj256ELj7ELj100EEvPKT0_PKjPS1_.has_dyn_sized_stack, 0
	.set _Z6kernelI18scatter_to_stripediLj256ELj7ELj100EEvPKT0_PKjPS1_.has_recursion, 0
	.set _Z6kernelI18scatter_to_stripediLj256ELj7ELj100EEvPKT0_PKjPS1_.has_indirect_call, 0
	.section	.AMDGPU.csdata,"",@progbits
; Kernel info:
; codeLenInByte = 572
; TotalNumSgprs: 9
; NumVgprs: 16
; ScratchSize: 0
; MemoryBound: 0
; FloatMode: 240
; IeeeMode: 1
; LDSByteSize: 7168 bytes/workgroup (compile time only)
; SGPRBlocks: 0
; VGPRBlocks: 0
; NumSGPRsForWavesPerEU: 9
; NumVGPRsForWavesPerEU: 16
; NamedBarCnt: 0
; Occupancy: 16
; WaveLimiterHint : 1
; COMPUTE_PGM_RSRC2:SCRATCH_EN: 0
; COMPUTE_PGM_RSRC2:USER_SGPR: 2
; COMPUTE_PGM_RSRC2:TRAP_HANDLER: 0
; COMPUTE_PGM_RSRC2:TGID_X_EN: 1
; COMPUTE_PGM_RSRC2:TGID_Y_EN: 0
; COMPUTE_PGM_RSRC2:TGID_Z_EN: 0
; COMPUTE_PGM_RSRC2:TIDIG_COMP_CNT: 0
	.section	.text._Z6kernelI18scatter_to_stripediLj256ELj8ELj100EEvPKT0_PKjPS1_,"axG",@progbits,_Z6kernelI18scatter_to_stripediLj256ELj8ELj100EEvPKT0_PKjPS1_,comdat
	.protected	_Z6kernelI18scatter_to_stripediLj256ELj8ELj100EEvPKT0_PKjPS1_ ; -- Begin function _Z6kernelI18scatter_to_stripediLj256ELj8ELj100EEvPKT0_PKjPS1_
	.globl	_Z6kernelI18scatter_to_stripediLj256ELj8ELj100EEvPKT0_PKjPS1_
	.p2align	8
	.type	_Z6kernelI18scatter_to_stripediLj256ELj8ELj100EEvPKT0_PKjPS1_,@function
_Z6kernelI18scatter_to_stripediLj256ELj8ELj100EEvPKT0_PKjPS1_: ; @_Z6kernelI18scatter_to_stripediLj256ELj8ELj100EEvPKT0_PKjPS1_
; %bb.0:
	s_load_b128 s[4:7], s[0:1], 0x0
	s_bfe_u32 s2, ttmp6, 0x4000c
	s_and_b32 s3, ttmp6, 15
	s_add_co_i32 s2, s2, 1
	s_getreg_b32 s8, hwreg(HW_REG_IB_STS2, 6, 4)
	s_mul_i32 s2, ttmp9, s2
	s_wait_xcnt 0x0
	s_load_b64 s[0:1], s[0:1], 0x10
	s_add_co_i32 s3, s3, s2
	s_cmp_eq_u32 s8, 0
	v_lshlrev_b32_e32 v17, 2, v0
	s_cselect_b32 s2, ttmp9, s3
	s_mov_b32 s3, 0
	s_lshl_b32 s2, s2, 11
	s_delay_alu instid0(SALU_CYCLE_1)
	s_lshl_b64 s[2:3], s[2:3], 2
	s_wait_kmcnt 0x0
	s_add_nc_u64 s[6:7], s[6:7], s[2:3]
	s_add_nc_u64 s[4:5], s[4:5], s[2:3]
	s_clause 0xf
	global_load_b32 v1, v0, s[6:7] scale_offset
	global_load_b32 v10, v0, s[6:7] offset:1024 scale_offset
	global_load_b32 v11, v0, s[6:7] offset:2048 scale_offset
	;; [unrolled: 1-line block ×7, first 2 shown]
	global_load_b32 v2, v0, s[4:5] scale_offset
	global_load_b32 v3, v0, s[4:5] offset:1024 scale_offset
	global_load_b32 v4, v0, s[4:5] offset:2048 scale_offset
	;; [unrolled: 1-line block ×6, first 2 shown]
	; meta instruction
	global_load_b32 v9, v0, s[4:5] offset:7168 scale_offset
	s_wait_xcnt 0x0
	s_movk_i32 s4, 0x64
	s_wait_loadcnt 0xe
	v_dual_lshlrev_b32 v1, 2, v1 :: v_dual_lshlrev_b32 v10, 2, v10
	s_wait_loadcnt 0xc
	v_dual_lshlrev_b32 v11, 2, v11 :: v_dual_lshlrev_b32 v12, 2, v12
	;; [unrolled: 2-line block ×4, first 2 shown]
.LBB155_1:                              ; =>This Inner Loop Header: Depth=1
	s_wait_loadcnt 0x7
	ds_store_b32 v1, v2
	s_wait_loadcnt 0x6
	ds_store_b32 v10, v3
	;; [unrolled: 2-line block ×8, first 2 shown]
	s_wait_dscnt 0x0
	s_barrier_signal -1
	s_barrier_wait -1
	ds_load_2addr_stride64_b32 v[2:3], v17 offset1:4
	ds_load_2addr_stride64_b32 v[4:5], v17 offset0:8 offset1:12
	ds_load_2addr_stride64_b32 v[6:7], v17 offset0:16 offset1:20
	;; [unrolled: 1-line block ×3, first 2 shown]
	s_add_co_i32 s4, s4, -1
	s_wait_dscnt 0x0
	s_cmp_lg_u32 s4, 0
	s_barrier_signal -1
	s_barrier_wait -1
	s_cbranch_scc1 .LBB155_1
; %bb.2:
	s_add_nc_u64 s[0:1], s[0:1], s[2:3]
	s_clause 0x7
	global_store_b32 v0, v2, s[0:1] scale_offset
	global_store_b32 v0, v3, s[0:1] offset:1024 scale_offset
	global_store_b32 v0, v4, s[0:1] offset:2048 scale_offset
	;; [unrolled: 1-line block ×7, first 2 shown]
	s_endpgm
	.section	.rodata,"a",@progbits
	.p2align	6, 0x0
	.amdhsa_kernel _Z6kernelI18scatter_to_stripediLj256ELj8ELj100EEvPKT0_PKjPS1_
		.amdhsa_group_segment_fixed_size 8448
		.amdhsa_private_segment_fixed_size 0
		.amdhsa_kernarg_size 24
		.amdhsa_user_sgpr_count 2
		.amdhsa_user_sgpr_dispatch_ptr 0
		.amdhsa_user_sgpr_queue_ptr 0
		.amdhsa_user_sgpr_kernarg_segment_ptr 1
		.amdhsa_user_sgpr_dispatch_id 0
		.amdhsa_user_sgpr_kernarg_preload_length 0
		.amdhsa_user_sgpr_kernarg_preload_offset 0
		.amdhsa_user_sgpr_private_segment_size 0
		.amdhsa_wavefront_size32 1
		.amdhsa_uses_dynamic_stack 0
		.amdhsa_enable_private_segment 0
		.amdhsa_system_sgpr_workgroup_id_x 1
		.amdhsa_system_sgpr_workgroup_id_y 0
		.amdhsa_system_sgpr_workgroup_id_z 0
		.amdhsa_system_sgpr_workgroup_info 0
		.amdhsa_system_vgpr_workitem_id 0
		.amdhsa_next_free_vgpr 18
		.amdhsa_next_free_sgpr 9
		.amdhsa_named_barrier_count 0
		.amdhsa_reserve_vcc 0
		.amdhsa_float_round_mode_32 0
		.amdhsa_float_round_mode_16_64 0
		.amdhsa_float_denorm_mode_32 3
		.amdhsa_float_denorm_mode_16_64 3
		.amdhsa_fp16_overflow 0
		.amdhsa_memory_ordered 1
		.amdhsa_forward_progress 1
		.amdhsa_inst_pref_size 5
		.amdhsa_round_robin_scheduling 0
		.amdhsa_exception_fp_ieee_invalid_op 0
		.amdhsa_exception_fp_denorm_src 0
		.amdhsa_exception_fp_ieee_div_zero 0
		.amdhsa_exception_fp_ieee_overflow 0
		.amdhsa_exception_fp_ieee_underflow 0
		.amdhsa_exception_fp_ieee_inexact 0
		.amdhsa_exception_int_div_zero 0
	.end_amdhsa_kernel
	.section	.text._Z6kernelI18scatter_to_stripediLj256ELj8ELj100EEvPKT0_PKjPS1_,"axG",@progbits,_Z6kernelI18scatter_to_stripediLj256ELj8ELj100EEvPKT0_PKjPS1_,comdat
.Lfunc_end155:
	.size	_Z6kernelI18scatter_to_stripediLj256ELj8ELj100EEvPKT0_PKjPS1_, .Lfunc_end155-_Z6kernelI18scatter_to_stripediLj256ELj8ELj100EEvPKT0_PKjPS1_
                                        ; -- End function
	.set _Z6kernelI18scatter_to_stripediLj256ELj8ELj100EEvPKT0_PKjPS1_.num_vgpr, 18
	.set _Z6kernelI18scatter_to_stripediLj256ELj8ELj100EEvPKT0_PKjPS1_.num_agpr, 0
	.set _Z6kernelI18scatter_to_stripediLj256ELj8ELj100EEvPKT0_PKjPS1_.numbered_sgpr, 9
	.set _Z6kernelI18scatter_to_stripediLj256ELj8ELj100EEvPKT0_PKjPS1_.num_named_barrier, 0
	.set _Z6kernelI18scatter_to_stripediLj256ELj8ELj100EEvPKT0_PKjPS1_.private_seg_size, 0
	.set _Z6kernelI18scatter_to_stripediLj256ELj8ELj100EEvPKT0_PKjPS1_.uses_vcc, 0
	.set _Z6kernelI18scatter_to_stripediLj256ELj8ELj100EEvPKT0_PKjPS1_.uses_flat_scratch, 0
	.set _Z6kernelI18scatter_to_stripediLj256ELj8ELj100EEvPKT0_PKjPS1_.has_dyn_sized_stack, 0
	.set _Z6kernelI18scatter_to_stripediLj256ELj8ELj100EEvPKT0_PKjPS1_.has_recursion, 0
	.set _Z6kernelI18scatter_to_stripediLj256ELj8ELj100EEvPKT0_PKjPS1_.has_indirect_call, 0
	.section	.AMDGPU.csdata,"",@progbits
; Kernel info:
; codeLenInByte = 628
; TotalNumSgprs: 9
; NumVgprs: 18
; ScratchSize: 0
; MemoryBound: 0
; FloatMode: 240
; IeeeMode: 1
; LDSByteSize: 8448 bytes/workgroup (compile time only)
; SGPRBlocks: 0
; VGPRBlocks: 1
; NumSGPRsForWavesPerEU: 9
; NumVGPRsForWavesPerEU: 18
; NamedBarCnt: 0
; Occupancy: 16
; WaveLimiterHint : 1
; COMPUTE_PGM_RSRC2:SCRATCH_EN: 0
; COMPUTE_PGM_RSRC2:USER_SGPR: 2
; COMPUTE_PGM_RSRC2:TRAP_HANDLER: 0
; COMPUTE_PGM_RSRC2:TGID_X_EN: 1
; COMPUTE_PGM_RSRC2:TGID_Y_EN: 0
; COMPUTE_PGM_RSRC2:TGID_Z_EN: 0
; COMPUTE_PGM_RSRC2:TIDIG_COMP_CNT: 0
	.section	.text._Z6kernelI18scatter_to_stripedaLj256ELj1ELj100EEvPKT0_PKjPS1_,"axG",@progbits,_Z6kernelI18scatter_to_stripedaLj256ELj1ELj100EEvPKT0_PKjPS1_,comdat
	.protected	_Z6kernelI18scatter_to_stripedaLj256ELj1ELj100EEvPKT0_PKjPS1_ ; -- Begin function _Z6kernelI18scatter_to_stripedaLj256ELj1ELj100EEvPKT0_PKjPS1_
	.globl	_Z6kernelI18scatter_to_stripedaLj256ELj1ELj100EEvPKT0_PKjPS1_
	.p2align	8
	.type	_Z6kernelI18scatter_to_stripedaLj256ELj1ELj100EEvPKT0_PKjPS1_,@function
_Z6kernelI18scatter_to_stripedaLj256ELj1ELj100EEvPKT0_PKjPS1_: ; @_Z6kernelI18scatter_to_stripedaLj256ELj1ELj100EEvPKT0_PKjPS1_
; %bb.0:
	s_load_b128 s[4:7], s[0:1], 0x0
	s_bfe_u32 s2, ttmp6, 0x4000c
	s_and_b32 s3, ttmp6, 15
	s_add_co_i32 s2, s2, 1
	s_getreg_b32 s8, hwreg(HW_REG_IB_STS2, 6, 4)
	s_mul_i32 s2, ttmp9, s2
	s_wait_xcnt 0x0
	s_load_b64 s[0:1], s[0:1], 0x10
	s_add_co_i32 s3, s3, s2
	s_cmp_eq_u32 s8, 0
	v_mov_b32_e32 v1, 0
	s_cselect_b32 s2, ttmp9, s3
	s_mov_b32 s3, 0
	s_lshl_b32 s2, s2, 8
	s_delay_alu instid0(SALU_CYCLE_1)
	s_lshl_b64 s[8:9], s[2:3], 2
	s_wait_kmcnt 0x0
	s_add_nc_u64 s[4:5], s[4:5], s[2:3]
	s_add_nc_u64 s[6:7], s[6:7], s[8:9]
	s_clause 0x1
	global_load_u8 v2, v0, s[4:5]
	global_load_b32 v3, v0, s[6:7] scale_offset
	s_wait_xcnt 0x1
	s_movk_i32 s4, 0x64
.LBB156_1:                              ; =>This Inner Loop Header: Depth=1
	s_wait_loadcnt 0x0
	ds_store_b8 v3, v2
	s_wait_dscnt 0x0
	s_barrier_signal -1
	s_barrier_wait -1
	ds_load_u8 v2, v0
	s_add_co_i32 s4, s4, -1
	s_wait_dscnt 0x0
	s_cmp_lg_u32 s4, 0
	s_barrier_signal -1
	s_barrier_wait -1
	s_cbranch_scc1 .LBB156_1
; %bb.2:
	s_add_nc_u64 s[0:1], s[0:1], s[2:3]
	s_delay_alu instid0(SALU_CYCLE_1)
	v_add_nc_u64_e32 v[0:1], s[0:1], v[0:1]
	global_store_b8 v[0:1], v2, off
	s_endpgm
	.section	.rodata,"a",@progbits
	.p2align	6, 0x0
	.amdhsa_kernel _Z6kernelI18scatter_to_stripedaLj256ELj1ELj100EEvPKT0_PKjPS1_
		.amdhsa_group_segment_fixed_size 256
		.amdhsa_private_segment_fixed_size 0
		.amdhsa_kernarg_size 24
		.amdhsa_user_sgpr_count 2
		.amdhsa_user_sgpr_dispatch_ptr 0
		.amdhsa_user_sgpr_queue_ptr 0
		.amdhsa_user_sgpr_kernarg_segment_ptr 1
		.amdhsa_user_sgpr_dispatch_id 0
		.amdhsa_user_sgpr_kernarg_preload_length 0
		.amdhsa_user_sgpr_kernarg_preload_offset 0
		.amdhsa_user_sgpr_private_segment_size 0
		.amdhsa_wavefront_size32 1
		.amdhsa_uses_dynamic_stack 0
		.amdhsa_enable_private_segment 0
		.amdhsa_system_sgpr_workgroup_id_x 1
		.amdhsa_system_sgpr_workgroup_id_y 0
		.amdhsa_system_sgpr_workgroup_id_z 0
		.amdhsa_system_sgpr_workgroup_info 0
		.amdhsa_system_vgpr_workitem_id 0
		.amdhsa_next_free_vgpr 4
		.amdhsa_next_free_sgpr 10
		.amdhsa_named_barrier_count 0
		.amdhsa_reserve_vcc 0
		.amdhsa_float_round_mode_32 0
		.amdhsa_float_round_mode_16_64 0
		.amdhsa_float_denorm_mode_32 3
		.amdhsa_float_denorm_mode_16_64 3
		.amdhsa_fp16_overflow 0
		.amdhsa_memory_ordered 1
		.amdhsa_forward_progress 1
		.amdhsa_inst_pref_size 2
		.amdhsa_round_robin_scheduling 0
		.amdhsa_exception_fp_ieee_invalid_op 0
		.amdhsa_exception_fp_denorm_src 0
		.amdhsa_exception_fp_ieee_div_zero 0
		.amdhsa_exception_fp_ieee_overflow 0
		.amdhsa_exception_fp_ieee_underflow 0
		.amdhsa_exception_fp_ieee_inexact 0
		.amdhsa_exception_int_div_zero 0
	.end_amdhsa_kernel
	.section	.text._Z6kernelI18scatter_to_stripedaLj256ELj1ELj100EEvPKT0_PKjPS1_,"axG",@progbits,_Z6kernelI18scatter_to_stripedaLj256ELj1ELj100EEvPKT0_PKjPS1_,comdat
.Lfunc_end156:
	.size	_Z6kernelI18scatter_to_stripedaLj256ELj1ELj100EEvPKT0_PKjPS1_, .Lfunc_end156-_Z6kernelI18scatter_to_stripedaLj256ELj1ELj100EEvPKT0_PKjPS1_
                                        ; -- End function
	.set _Z6kernelI18scatter_to_stripedaLj256ELj1ELj100EEvPKT0_PKjPS1_.num_vgpr, 4
	.set _Z6kernelI18scatter_to_stripedaLj256ELj1ELj100EEvPKT0_PKjPS1_.num_agpr, 0
	.set _Z6kernelI18scatter_to_stripedaLj256ELj1ELj100EEvPKT0_PKjPS1_.numbered_sgpr, 10
	.set _Z6kernelI18scatter_to_stripedaLj256ELj1ELj100EEvPKT0_PKjPS1_.num_named_barrier, 0
	.set _Z6kernelI18scatter_to_stripedaLj256ELj1ELj100EEvPKT0_PKjPS1_.private_seg_size, 0
	.set _Z6kernelI18scatter_to_stripedaLj256ELj1ELj100EEvPKT0_PKjPS1_.uses_vcc, 0
	.set _Z6kernelI18scatter_to_stripedaLj256ELj1ELj100EEvPKT0_PKjPS1_.uses_flat_scratch, 0
	.set _Z6kernelI18scatter_to_stripedaLj256ELj1ELj100EEvPKT0_PKjPS1_.has_dyn_sized_stack, 0
	.set _Z6kernelI18scatter_to_stripedaLj256ELj1ELj100EEvPKT0_PKjPS1_.has_recursion, 0
	.set _Z6kernelI18scatter_to_stripedaLj256ELj1ELj100EEvPKT0_PKjPS1_.has_indirect_call, 0
	.section	.AMDGPU.csdata,"",@progbits
; Kernel info:
; codeLenInByte = 208
; TotalNumSgprs: 10
; NumVgprs: 4
; ScratchSize: 0
; MemoryBound: 0
; FloatMode: 240
; IeeeMode: 1
; LDSByteSize: 256 bytes/workgroup (compile time only)
; SGPRBlocks: 0
; VGPRBlocks: 0
; NumSGPRsForWavesPerEU: 10
; NumVGPRsForWavesPerEU: 4
; NamedBarCnt: 0
; Occupancy: 16
; WaveLimiterHint : 0
; COMPUTE_PGM_RSRC2:SCRATCH_EN: 0
; COMPUTE_PGM_RSRC2:USER_SGPR: 2
; COMPUTE_PGM_RSRC2:TRAP_HANDLER: 0
; COMPUTE_PGM_RSRC2:TGID_X_EN: 1
; COMPUTE_PGM_RSRC2:TGID_Y_EN: 0
; COMPUTE_PGM_RSRC2:TGID_Z_EN: 0
; COMPUTE_PGM_RSRC2:TIDIG_COMP_CNT: 0
	.section	.text._Z6kernelI18scatter_to_stripedaLj256ELj2ELj100EEvPKT0_PKjPS1_,"axG",@progbits,_Z6kernelI18scatter_to_stripedaLj256ELj2ELj100EEvPKT0_PKjPS1_,comdat
	.protected	_Z6kernelI18scatter_to_stripedaLj256ELj2ELj100EEvPKT0_PKjPS1_ ; -- Begin function _Z6kernelI18scatter_to_stripedaLj256ELj2ELj100EEvPKT0_PKjPS1_
	.globl	_Z6kernelI18scatter_to_stripedaLj256ELj2ELj100EEvPKT0_PKjPS1_
	.p2align	8
	.type	_Z6kernelI18scatter_to_stripedaLj256ELj2ELj100EEvPKT0_PKjPS1_,@function
_Z6kernelI18scatter_to_stripedaLj256ELj2ELj100EEvPKT0_PKjPS1_: ; @_Z6kernelI18scatter_to_stripedaLj256ELj2ELj100EEvPKT0_PKjPS1_
; %bb.0:
	s_load_b128 s[4:7], s[0:1], 0x0
	s_bfe_u32 s2, ttmp6, 0x4000c
	s_and_b32 s3, ttmp6, 15
	s_add_co_i32 s2, s2, 1
	s_getreg_b32 s8, hwreg(HW_REG_IB_STS2, 6, 4)
	s_mul_i32 s2, ttmp9, s2
	s_wait_xcnt 0x0
	s_load_b64 s[0:1], s[0:1], 0x10
	s_add_co_i32 s3, s3, s2
	s_cmp_eq_u32 s8, 0
	v_mov_b32_e32 v1, 0
	s_cselect_b32 s2, ttmp9, s3
	s_mov_b32 s3, 0
	s_lshl_b32 s2, s2, 9
	s_delay_alu instid0(SALU_CYCLE_1)
	s_lshl_b64 s[8:9], s[2:3], 2
	s_wait_kmcnt 0x0
	s_add_nc_u64 s[4:5], s[4:5], s[2:3]
	s_add_nc_u64 s[6:7], s[6:7], s[8:9]
	s_clause 0x3
	global_load_u8 v4, v0, s[4:5] offset:256
	global_load_b32 v2, v0, s[6:7] scale_offset
	global_load_b32 v3, v0, s[6:7] offset:1024 scale_offset
	global_load_u8 v5, v0, s[4:5]
	s_wait_xcnt 0x0
	s_movk_i32 s4, 0x64
	s_wait_loadcnt 0x0
	v_perm_b32 v6, v5, v4, 0xc0c0004
.LBB157_1:                              ; =>This Inner Loop Header: Depth=1
	s_delay_alu instid0(VALU_DEP_1)
	v_lshrrev_b16 v4, 8, v6
	s_add_co_i32 s4, s4, -1
	ds_store_b8 v2, v6
	ds_store_b8 v3, v4
	s_wait_dscnt 0x0
	s_barrier_signal -1
	s_barrier_wait -1
	ds_load_u8 v4, v0
	ds_load_u8 v5, v0 offset:256
	s_cmp_lg_u32 s4, 0
	s_wait_dscnt 0x0
	s_barrier_signal -1
	s_barrier_wait -1
	v_perm_b32 v6, v4, v5, 0xc0c0004
	s_cbranch_scc1 .LBB157_1
; %bb.2:
	s_add_nc_u64 s[0:1], s[0:1], s[2:3]
	s_delay_alu instid0(SALU_CYCLE_1)
	v_add_nc_u64_e32 v[0:1], s[0:1], v[0:1]
	s_clause 0x1
	global_store_b8 v[0:1], v4, off
	global_store_b8 v[0:1], v5, off offset:256
	s_endpgm
	.section	.rodata,"a",@progbits
	.p2align	6, 0x0
	.amdhsa_kernel _Z6kernelI18scatter_to_stripedaLj256ELj2ELj100EEvPKT0_PKjPS1_
		.amdhsa_group_segment_fixed_size 528
		.amdhsa_private_segment_fixed_size 0
		.amdhsa_kernarg_size 24
		.amdhsa_user_sgpr_count 2
		.amdhsa_user_sgpr_dispatch_ptr 0
		.amdhsa_user_sgpr_queue_ptr 0
		.amdhsa_user_sgpr_kernarg_segment_ptr 1
		.amdhsa_user_sgpr_dispatch_id 0
		.amdhsa_user_sgpr_kernarg_preload_length 0
		.amdhsa_user_sgpr_kernarg_preload_offset 0
		.amdhsa_user_sgpr_private_segment_size 0
		.amdhsa_wavefront_size32 1
		.amdhsa_uses_dynamic_stack 0
		.amdhsa_enable_private_segment 0
		.amdhsa_system_sgpr_workgroup_id_x 1
		.amdhsa_system_sgpr_workgroup_id_y 0
		.amdhsa_system_sgpr_workgroup_id_z 0
		.amdhsa_system_sgpr_workgroup_info 0
		.amdhsa_system_vgpr_workitem_id 0
		.amdhsa_next_free_vgpr 7
		.amdhsa_next_free_sgpr 10
		.amdhsa_named_barrier_count 0
		.amdhsa_reserve_vcc 0
		.amdhsa_float_round_mode_32 0
		.amdhsa_float_round_mode_16_64 0
		.amdhsa_float_denorm_mode_32 3
		.amdhsa_float_denorm_mode_16_64 3
		.amdhsa_fp16_overflow 0
		.amdhsa_memory_ordered 1
		.amdhsa_forward_progress 1
		.amdhsa_inst_pref_size 3
		.amdhsa_round_robin_scheduling 0
		.amdhsa_exception_fp_ieee_invalid_op 0
		.amdhsa_exception_fp_denorm_src 0
		.amdhsa_exception_fp_ieee_div_zero 0
		.amdhsa_exception_fp_ieee_overflow 0
		.amdhsa_exception_fp_ieee_underflow 0
		.amdhsa_exception_fp_ieee_inexact 0
		.amdhsa_exception_int_div_zero 0
	.end_amdhsa_kernel
	.section	.text._Z6kernelI18scatter_to_stripedaLj256ELj2ELj100EEvPKT0_PKjPS1_,"axG",@progbits,_Z6kernelI18scatter_to_stripedaLj256ELj2ELj100EEvPKT0_PKjPS1_,comdat
.Lfunc_end157:
	.size	_Z6kernelI18scatter_to_stripedaLj256ELj2ELj100EEvPKT0_PKjPS1_, .Lfunc_end157-_Z6kernelI18scatter_to_stripedaLj256ELj2ELj100EEvPKT0_PKjPS1_
                                        ; -- End function
	.set _Z6kernelI18scatter_to_stripedaLj256ELj2ELj100EEvPKT0_PKjPS1_.num_vgpr, 7
	.set _Z6kernelI18scatter_to_stripedaLj256ELj2ELj100EEvPKT0_PKjPS1_.num_agpr, 0
	.set _Z6kernelI18scatter_to_stripedaLj256ELj2ELj100EEvPKT0_PKjPS1_.numbered_sgpr, 10
	.set _Z6kernelI18scatter_to_stripedaLj256ELj2ELj100EEvPKT0_PKjPS1_.num_named_barrier, 0
	.set _Z6kernelI18scatter_to_stripedaLj256ELj2ELj100EEvPKT0_PKjPS1_.private_seg_size, 0
	.set _Z6kernelI18scatter_to_stripedaLj256ELj2ELj100EEvPKT0_PKjPS1_.uses_vcc, 0
	.set _Z6kernelI18scatter_to_stripedaLj256ELj2ELj100EEvPKT0_PKjPS1_.uses_flat_scratch, 0
	.set _Z6kernelI18scatter_to_stripedaLj256ELj2ELj100EEvPKT0_PKjPS1_.has_dyn_sized_stack, 0
	.set _Z6kernelI18scatter_to_stripedaLj256ELj2ELj100EEvPKT0_PKjPS1_.has_recursion, 0
	.set _Z6kernelI18scatter_to_stripedaLj256ELj2ELj100EEvPKT0_PKjPS1_.has_indirect_call, 0
	.section	.AMDGPU.csdata,"",@progbits
; Kernel info:
; codeLenInByte = 300
; TotalNumSgprs: 10
; NumVgprs: 7
; ScratchSize: 0
; MemoryBound: 0
; FloatMode: 240
; IeeeMode: 1
; LDSByteSize: 528 bytes/workgroup (compile time only)
; SGPRBlocks: 0
; VGPRBlocks: 0
; NumSGPRsForWavesPerEU: 10
; NumVGPRsForWavesPerEU: 7
; NamedBarCnt: 0
; Occupancy: 16
; WaveLimiterHint : 1
; COMPUTE_PGM_RSRC2:SCRATCH_EN: 0
; COMPUTE_PGM_RSRC2:USER_SGPR: 2
; COMPUTE_PGM_RSRC2:TRAP_HANDLER: 0
; COMPUTE_PGM_RSRC2:TGID_X_EN: 1
; COMPUTE_PGM_RSRC2:TGID_Y_EN: 0
; COMPUTE_PGM_RSRC2:TGID_Z_EN: 0
; COMPUTE_PGM_RSRC2:TIDIG_COMP_CNT: 0
	.section	.text._Z6kernelI18scatter_to_stripedaLj256ELj3ELj100EEvPKT0_PKjPS1_,"axG",@progbits,_Z6kernelI18scatter_to_stripedaLj256ELj3ELj100EEvPKT0_PKjPS1_,comdat
	.protected	_Z6kernelI18scatter_to_stripedaLj256ELj3ELj100EEvPKT0_PKjPS1_ ; -- Begin function _Z6kernelI18scatter_to_stripedaLj256ELj3ELj100EEvPKT0_PKjPS1_
	.globl	_Z6kernelI18scatter_to_stripedaLj256ELj3ELj100EEvPKT0_PKjPS1_
	.p2align	8
	.type	_Z6kernelI18scatter_to_stripedaLj256ELj3ELj100EEvPKT0_PKjPS1_,@function
_Z6kernelI18scatter_to_stripedaLj256ELj3ELj100EEvPKT0_PKjPS1_: ; @_Z6kernelI18scatter_to_stripedaLj256ELj3ELj100EEvPKT0_PKjPS1_
; %bb.0:
	s_load_b128 s[4:7], s[0:1], 0x0
	s_bfe_u32 s2, ttmp6, 0x4000c
	s_and_b32 s3, ttmp6, 15
	s_add_co_i32 s2, s2, 1
	s_getreg_b32 s8, hwreg(HW_REG_IB_STS2, 6, 4)
	s_mul_i32 s2, ttmp9, s2
	s_wait_xcnt 0x0
	s_load_b64 s[0:1], s[0:1], 0x10
	s_add_co_i32 s3, s3, s2
	s_cmp_eq_u32 s8, 0
	s_cselect_b32 s2, ttmp9, s3
	s_mov_b32 s3, 0
	s_mulk_i32 s2, 0x300
	s_delay_alu instid0(SALU_CYCLE_1)
	s_lshl_b64 s[8:9], s[2:3], 2
	s_wait_kmcnt 0x0
	s_add_nc_u64 s[4:5], s[4:5], s[2:3]
	s_add_nc_u64 s[6:7], s[6:7], s[8:9]
	s_clause 0x5
	global_load_u8 v1, v0, s[4:5] offset:256
	global_load_u8 v5, v0, s[4:5] offset:512
	global_load_b32 v2, v0, s[6:7] scale_offset
	global_load_b32 v3, v0, s[6:7] offset:1024 scale_offset
	global_load_b32 v4, v0, s[6:7] offset:2048 scale_offset
	global_load_u8 v6, v0, s[4:5]
	s_wait_xcnt 0x0
	s_movk_i32 s4, 0x64
	s_wait_loadcnt 0x0
	v_perm_b32 v6, v6, v1, 0xc0c0004
	v_mov_b32_e32 v1, 0
	s_delay_alu instid0(VALU_DEP_2)
	v_lshl_or_b32 v8, v5, 16, v6
.LBB158_1:                              ; =>This Inner Loop Header: Depth=1
	s_delay_alu instid0(VALU_DEP_1)
	v_lshrrev_b32_e32 v5, 8, v8
	s_add_co_i32 s4, s4, -1
	ds_store_b8 v2, v8
	ds_store_b8 v3, v5
	ds_store_b8_d16_hi v4, v8
	s_wait_dscnt 0x0
	s_barrier_signal -1
	s_barrier_wait -1
	ds_load_u8 v5, v0
	ds_load_u8 v6, v0 offset:256
	ds_load_u8 v7, v0 offset:512
	s_cmp_lg_u32 s4, 0
	s_wait_dscnt 0x0
	s_barrier_signal -1
	s_barrier_wait -1
	v_perm_b32 v8, v5, v6, 0xc0c0004
	v_lshlrev_b32_e32 v9, 16, v7
	s_delay_alu instid0(VALU_DEP_1)
	v_or_b32_e32 v8, v8, v9
	s_cbranch_scc1 .LBB158_1
; %bb.2:
	s_add_nc_u64 s[0:1], s[0:1], s[2:3]
	s_delay_alu instid0(SALU_CYCLE_1)
	v_add_nc_u64_e32 v[0:1], s[0:1], v[0:1]
	s_clause 0x2
	global_store_b8 v[0:1], v5, off
	global_store_b8 v[0:1], v6, off offset:256
	global_store_b8 v[0:1], v7, off offset:512
	s_endpgm
	.section	.rodata,"a",@progbits
	.p2align	6, 0x0
	.amdhsa_kernel _Z6kernelI18scatter_to_stripedaLj256ELj3ELj100EEvPKT0_PKjPS1_
		.amdhsa_group_segment_fixed_size 768
		.amdhsa_private_segment_fixed_size 0
		.amdhsa_kernarg_size 24
		.amdhsa_user_sgpr_count 2
		.amdhsa_user_sgpr_dispatch_ptr 0
		.amdhsa_user_sgpr_queue_ptr 0
		.amdhsa_user_sgpr_kernarg_segment_ptr 1
		.amdhsa_user_sgpr_dispatch_id 0
		.amdhsa_user_sgpr_kernarg_preload_length 0
		.amdhsa_user_sgpr_kernarg_preload_offset 0
		.amdhsa_user_sgpr_private_segment_size 0
		.amdhsa_wavefront_size32 1
		.amdhsa_uses_dynamic_stack 0
		.amdhsa_enable_private_segment 0
		.amdhsa_system_sgpr_workgroup_id_x 1
		.amdhsa_system_sgpr_workgroup_id_y 0
		.amdhsa_system_sgpr_workgroup_id_z 0
		.amdhsa_system_sgpr_workgroup_info 0
		.amdhsa_system_vgpr_workitem_id 0
		.amdhsa_next_free_vgpr 10
		.amdhsa_next_free_sgpr 10
		.amdhsa_named_barrier_count 0
		.amdhsa_reserve_vcc 0
		.amdhsa_float_round_mode_32 0
		.amdhsa_float_round_mode_16_64 0
		.amdhsa_float_denorm_mode_32 3
		.amdhsa_float_denorm_mode_16_64 3
		.amdhsa_fp16_overflow 0
		.amdhsa_memory_ordered 1
		.amdhsa_forward_progress 1
		.amdhsa_inst_pref_size 3
		.amdhsa_round_robin_scheduling 0
		.amdhsa_exception_fp_ieee_invalid_op 0
		.amdhsa_exception_fp_denorm_src 0
		.amdhsa_exception_fp_ieee_div_zero 0
		.amdhsa_exception_fp_ieee_overflow 0
		.amdhsa_exception_fp_ieee_underflow 0
		.amdhsa_exception_fp_ieee_inexact 0
		.amdhsa_exception_int_div_zero 0
	.end_amdhsa_kernel
	.section	.text._Z6kernelI18scatter_to_stripedaLj256ELj3ELj100EEvPKT0_PKjPS1_,"axG",@progbits,_Z6kernelI18scatter_to_stripedaLj256ELj3ELj100EEvPKT0_PKjPS1_,comdat
.Lfunc_end158:
	.size	_Z6kernelI18scatter_to_stripedaLj256ELj3ELj100EEvPKT0_PKjPS1_, .Lfunc_end158-_Z6kernelI18scatter_to_stripedaLj256ELj3ELj100EEvPKT0_PKjPS1_
                                        ; -- End function
	.set _Z6kernelI18scatter_to_stripedaLj256ELj3ELj100EEvPKT0_PKjPS1_.num_vgpr, 10
	.set _Z6kernelI18scatter_to_stripedaLj256ELj3ELj100EEvPKT0_PKjPS1_.num_agpr, 0
	.set _Z6kernelI18scatter_to_stripedaLj256ELj3ELj100EEvPKT0_PKjPS1_.numbered_sgpr, 10
	.set _Z6kernelI18scatter_to_stripedaLj256ELj3ELj100EEvPKT0_PKjPS1_.num_named_barrier, 0
	.set _Z6kernelI18scatter_to_stripedaLj256ELj3ELj100EEvPKT0_PKjPS1_.private_seg_size, 0
	.set _Z6kernelI18scatter_to_stripedaLj256ELj3ELj100EEvPKT0_PKjPS1_.uses_vcc, 0
	.set _Z6kernelI18scatter_to_stripedaLj256ELj3ELj100EEvPKT0_PKjPS1_.uses_flat_scratch, 0
	.set _Z6kernelI18scatter_to_stripedaLj256ELj3ELj100EEvPKT0_PKjPS1_.has_dyn_sized_stack, 0
	.set _Z6kernelI18scatter_to_stripedaLj256ELj3ELj100EEvPKT0_PKjPS1_.has_recursion, 0
	.set _Z6kernelI18scatter_to_stripedaLj256ELj3ELj100EEvPKT0_PKjPS1_.has_indirect_call, 0
	.section	.AMDGPU.csdata,"",@progbits
; Kernel info:
; codeLenInByte = 372
; TotalNumSgprs: 10
; NumVgprs: 10
; ScratchSize: 0
; MemoryBound: 0
; FloatMode: 240
; IeeeMode: 1
; LDSByteSize: 768 bytes/workgroup (compile time only)
; SGPRBlocks: 0
; VGPRBlocks: 0
; NumSGPRsForWavesPerEU: 10
; NumVGPRsForWavesPerEU: 10
; NamedBarCnt: 0
; Occupancy: 16
; WaveLimiterHint : 1
; COMPUTE_PGM_RSRC2:SCRATCH_EN: 0
; COMPUTE_PGM_RSRC2:USER_SGPR: 2
; COMPUTE_PGM_RSRC2:TRAP_HANDLER: 0
; COMPUTE_PGM_RSRC2:TGID_X_EN: 1
; COMPUTE_PGM_RSRC2:TGID_Y_EN: 0
; COMPUTE_PGM_RSRC2:TGID_Z_EN: 0
; COMPUTE_PGM_RSRC2:TIDIG_COMP_CNT: 0
	.section	.text._Z6kernelI18scatter_to_stripedaLj256ELj4ELj100EEvPKT0_PKjPS1_,"axG",@progbits,_Z6kernelI18scatter_to_stripedaLj256ELj4ELj100EEvPKT0_PKjPS1_,comdat
	.protected	_Z6kernelI18scatter_to_stripedaLj256ELj4ELj100EEvPKT0_PKjPS1_ ; -- Begin function _Z6kernelI18scatter_to_stripedaLj256ELj4ELj100EEvPKT0_PKjPS1_
	.globl	_Z6kernelI18scatter_to_stripedaLj256ELj4ELj100EEvPKT0_PKjPS1_
	.p2align	8
	.type	_Z6kernelI18scatter_to_stripedaLj256ELj4ELj100EEvPKT0_PKjPS1_,@function
_Z6kernelI18scatter_to_stripedaLj256ELj4ELj100EEvPKT0_PKjPS1_: ; @_Z6kernelI18scatter_to_stripedaLj256ELj4ELj100EEvPKT0_PKjPS1_
; %bb.0:
	s_load_b128 s[4:7], s[0:1], 0x0
	s_bfe_u32 s2, ttmp6, 0x4000c
	s_and_b32 s3, ttmp6, 15
	s_add_co_i32 s2, s2, 1
	s_getreg_b32 s8, hwreg(HW_REG_IB_STS2, 6, 4)
	s_mul_i32 s2, ttmp9, s2
	s_wait_xcnt 0x0
	s_load_b64 s[0:1], s[0:1], 0x10
	s_add_co_i32 s3, s3, s2
	s_cmp_eq_u32 s8, 0
	s_cselect_b32 s2, ttmp9, s3
	s_mov_b32 s3, 0
	s_lshl_b32 s2, s2, 10
	s_delay_alu instid0(SALU_CYCLE_1)
	s_lshl_b64 s[8:9], s[2:3], 2
	s_wait_kmcnt 0x0
	s_add_nc_u64 s[4:5], s[4:5], s[2:3]
	s_add_nc_u64 s[6:7], s[6:7], s[8:9]
	s_clause 0x7
	global_load_u8 v1, v0, s[4:5] offset:256
	global_load_b32 v2, v0, s[6:7] scale_offset
	global_load_b32 v3, v0, s[6:7] offset:1024 scale_offset
	global_load_b32 v4, v0, s[6:7] offset:2048 scale_offset
	;; [unrolled: 1-line block ×3, first 2 shown]
	global_load_u8 v6, v0, s[4:5] offset:512
	global_load_u8 v7, v0, s[4:5]
	global_load_u8 v8, v0, s[4:5] offset:768
	s_wait_xcnt 0x0
	s_movk_i32 s4, 0x64
	s_wait_loadcnt 0x1
	v_perm_b32 v7, v7, v1, 0xc0c0004
	s_wait_loadcnt 0x0
	v_perm_b32 v6, v6, v8, 0xc0c0004
	v_mov_b32_e32 v1, 0
	s_delay_alu instid0(VALU_DEP_2)
	v_lshl_or_b32 v6, v6, 16, v7
.LBB159_1:                              ; =>This Inner Loop Header: Depth=1
	s_delay_alu instid0(VALU_DEP_1)
	v_dual_lshrrev_b32 v7, 8, v6 :: v_dual_lshrrev_b32 v8, 24, v6
	s_add_co_i32 s4, s4, -1
	ds_store_b8 v2, v6
	ds_store_b8 v3, v7
	ds_store_b8_d16_hi v4, v6
	ds_store_b8 v5, v8
	s_wait_dscnt 0x0
	s_barrier_signal -1
	s_barrier_wait -1
	ds_load_u8 v7, v0
	ds_load_u8 v8, v0 offset:256
	ds_load_u8 v9, v0 offset:512
	ds_load_u8 v10, v0 offset:768
	s_cmp_lg_u32 s4, 0
	s_wait_dscnt 0x0
	s_barrier_signal -1
	s_barrier_wait -1
	v_perm_b32 v6, v7, v8, 0xc0c0004
	v_perm_b32 v11, v9, v10, 0xc0c0004
	s_delay_alu instid0(VALU_DEP_1)
	v_lshl_or_b32 v6, v11, 16, v6
	s_cbranch_scc1 .LBB159_1
; %bb.2:
	s_add_nc_u64 s[0:1], s[0:1], s[2:3]
	s_delay_alu instid0(SALU_CYCLE_1)
	v_add_nc_u64_e32 v[0:1], s[0:1], v[0:1]
	s_clause 0x3
	global_store_b8 v[0:1], v7, off
	global_store_b8 v[0:1], v8, off offset:256
	global_store_b8 v[0:1], v9, off offset:512
	;; [unrolled: 1-line block ×3, first 2 shown]
	s_endpgm
	.section	.rodata,"a",@progbits
	.p2align	6, 0x0
	.amdhsa_kernel _Z6kernelI18scatter_to_stripedaLj256ELj4ELj100EEvPKT0_PKjPS1_
		.amdhsa_group_segment_fixed_size 1056
		.amdhsa_private_segment_fixed_size 0
		.amdhsa_kernarg_size 24
		.amdhsa_user_sgpr_count 2
		.amdhsa_user_sgpr_dispatch_ptr 0
		.amdhsa_user_sgpr_queue_ptr 0
		.amdhsa_user_sgpr_kernarg_segment_ptr 1
		.amdhsa_user_sgpr_dispatch_id 0
		.amdhsa_user_sgpr_kernarg_preload_length 0
		.amdhsa_user_sgpr_kernarg_preload_offset 0
		.amdhsa_user_sgpr_private_segment_size 0
		.amdhsa_wavefront_size32 1
		.amdhsa_uses_dynamic_stack 0
		.amdhsa_enable_private_segment 0
		.amdhsa_system_sgpr_workgroup_id_x 1
		.amdhsa_system_sgpr_workgroup_id_y 0
		.amdhsa_system_sgpr_workgroup_id_z 0
		.amdhsa_system_sgpr_workgroup_info 0
		.amdhsa_system_vgpr_workitem_id 0
		.amdhsa_next_free_vgpr 12
		.amdhsa_next_free_sgpr 10
		.amdhsa_named_barrier_count 0
		.amdhsa_reserve_vcc 0
		.amdhsa_float_round_mode_32 0
		.amdhsa_float_round_mode_16_64 0
		.amdhsa_float_denorm_mode_32 3
		.amdhsa_float_denorm_mode_16_64 3
		.amdhsa_fp16_overflow 0
		.amdhsa_memory_ordered 1
		.amdhsa_forward_progress 1
		.amdhsa_inst_pref_size 4
		.amdhsa_round_robin_scheduling 0
		.amdhsa_exception_fp_ieee_invalid_op 0
		.amdhsa_exception_fp_denorm_src 0
		.amdhsa_exception_fp_ieee_div_zero 0
		.amdhsa_exception_fp_ieee_overflow 0
		.amdhsa_exception_fp_ieee_underflow 0
		.amdhsa_exception_fp_ieee_inexact 0
		.amdhsa_exception_int_div_zero 0
	.end_amdhsa_kernel
	.section	.text._Z6kernelI18scatter_to_stripedaLj256ELj4ELj100EEvPKT0_PKjPS1_,"axG",@progbits,_Z6kernelI18scatter_to_stripedaLj256ELj4ELj100EEvPKT0_PKjPS1_,comdat
.Lfunc_end159:
	.size	_Z6kernelI18scatter_to_stripedaLj256ELj4ELj100EEvPKT0_PKjPS1_, .Lfunc_end159-_Z6kernelI18scatter_to_stripedaLj256ELj4ELj100EEvPKT0_PKjPS1_
                                        ; -- End function
	.set _Z6kernelI18scatter_to_stripedaLj256ELj4ELj100EEvPKT0_PKjPS1_.num_vgpr, 12
	.set _Z6kernelI18scatter_to_stripedaLj256ELj4ELj100EEvPKT0_PKjPS1_.num_agpr, 0
	.set _Z6kernelI18scatter_to_stripedaLj256ELj4ELj100EEvPKT0_PKjPS1_.numbered_sgpr, 10
	.set _Z6kernelI18scatter_to_stripedaLj256ELj4ELj100EEvPKT0_PKjPS1_.num_named_barrier, 0
	.set _Z6kernelI18scatter_to_stripedaLj256ELj4ELj100EEvPKT0_PKjPS1_.private_seg_size, 0
	.set _Z6kernelI18scatter_to_stripedaLj256ELj4ELj100EEvPKT0_PKjPS1_.uses_vcc, 0
	.set _Z6kernelI18scatter_to_stripedaLj256ELj4ELj100EEvPKT0_PKjPS1_.uses_flat_scratch, 0
	.set _Z6kernelI18scatter_to_stripedaLj256ELj4ELj100EEvPKT0_PKjPS1_.has_dyn_sized_stack, 0
	.set _Z6kernelI18scatter_to_stripedaLj256ELj4ELj100EEvPKT0_PKjPS1_.has_recursion, 0
	.set _Z6kernelI18scatter_to_stripedaLj256ELj4ELj100EEvPKT0_PKjPS1_.has_indirect_call, 0
	.section	.AMDGPU.csdata,"",@progbits
; Kernel info:
; codeLenInByte = 460
; TotalNumSgprs: 10
; NumVgprs: 12
; ScratchSize: 0
; MemoryBound: 0
; FloatMode: 240
; IeeeMode: 1
; LDSByteSize: 1056 bytes/workgroup (compile time only)
; SGPRBlocks: 0
; VGPRBlocks: 0
; NumSGPRsForWavesPerEU: 10
; NumVGPRsForWavesPerEU: 12
; NamedBarCnt: 0
; Occupancy: 16
; WaveLimiterHint : 1
; COMPUTE_PGM_RSRC2:SCRATCH_EN: 0
; COMPUTE_PGM_RSRC2:USER_SGPR: 2
; COMPUTE_PGM_RSRC2:TRAP_HANDLER: 0
; COMPUTE_PGM_RSRC2:TGID_X_EN: 1
; COMPUTE_PGM_RSRC2:TGID_Y_EN: 0
; COMPUTE_PGM_RSRC2:TGID_Z_EN: 0
; COMPUTE_PGM_RSRC2:TIDIG_COMP_CNT: 0
	.section	.text._Z6kernelI18scatter_to_stripedaLj256ELj7ELj100EEvPKT0_PKjPS1_,"axG",@progbits,_Z6kernelI18scatter_to_stripedaLj256ELj7ELj100EEvPKT0_PKjPS1_,comdat
	.protected	_Z6kernelI18scatter_to_stripedaLj256ELj7ELj100EEvPKT0_PKjPS1_ ; -- Begin function _Z6kernelI18scatter_to_stripedaLj256ELj7ELj100EEvPKT0_PKjPS1_
	.globl	_Z6kernelI18scatter_to_stripedaLj256ELj7ELj100EEvPKT0_PKjPS1_
	.p2align	8
	.type	_Z6kernelI18scatter_to_stripedaLj256ELj7ELj100EEvPKT0_PKjPS1_,@function
_Z6kernelI18scatter_to_stripedaLj256ELj7ELj100EEvPKT0_PKjPS1_: ; @_Z6kernelI18scatter_to_stripedaLj256ELj7ELj100EEvPKT0_PKjPS1_
; %bb.0:
	s_load_b128 s[4:7], s[0:1], 0x0
	s_bfe_u32 s2, ttmp6, 0x4000c
	s_and_b32 s3, ttmp6, 15
	s_add_co_i32 s2, s2, 1
	s_getreg_b32 s8, hwreg(HW_REG_IB_STS2, 6, 4)
	s_mul_i32 s2, ttmp9, s2
	s_wait_xcnt 0x0
	s_load_b64 s[0:1], s[0:1], 0x10
	s_add_co_i32 s3, s3, s2
	s_cmp_eq_u32 s8, 0
	s_cselect_b32 s2, ttmp9, s3
	s_mov_b32 s3, 0
	s_mulk_i32 s2, 0x700
	s_delay_alu instid0(SALU_CYCLE_1)
	s_lshl_b64 s[8:9], s[2:3], 2
	s_wait_kmcnt 0x0
	s_add_nc_u64 s[4:5], s[4:5], s[2:3]
	s_add_nc_u64 s[6:7], s[6:7], s[8:9]
	s_clause 0xd
	global_load_u8 v3, v0, s[4:5] offset:1280
	global_load_u8 v2, v0, s[4:5] offset:1536
	global_load_b32 v4, v0, s[6:7] scale_offset
	global_load_u8 v1, v0, s[4:5] offset:256
	global_load_u8 v12, v0, s[4:5] offset:512
	global_load_u8 v13, v0, s[4:5]
	global_load_u8 v14, v0, s[4:5] offset:768
	global_load_u8 v7, v0, s[4:5] offset:1024
	global_load_b32 v5, v0, s[6:7] offset:1024 scale_offset
	global_load_b32 v6, v0, s[6:7] offset:2048 scale_offset
	;; [unrolled: 1-line block ×6, first 2 shown]
	s_wait_xcnt 0x6
	s_movk_i32 s4, 0x64
	s_wait_loadcnt 0x8
	v_perm_b32 v13, v13, v1, 0xc0c0004
	s_wait_loadcnt 0x7
	v_perm_b32 v12, v12, v14, 0xc0c0004
	v_mov_b32_e32 v1, 0
	s_delay_alu instid0(VALU_DEP_2)
	v_lshl_or_b32 v16, v12, 16, v13
.LBB160_1:                              ; =>This Inner Loop Header: Depth=1
	s_delay_alu instid0(VALU_DEP_1)
	v_dual_lshrrev_b32 v12, 8, v16 :: v_dual_lshrrev_b32 v13, 24, v16
	s_add_co_i32 s4, s4, -1
	ds_store_b8 v4, v16
	s_wait_loadcnt 0x5
	ds_store_b8 v5, v12
	s_wait_loadcnt 0x4
	ds_store_b8_d16_hi v6, v16
	s_wait_loadcnt 0x3
	ds_store_b8 v8, v13
	s_wait_loadcnt 0x2
	ds_store_b8 v9, v7
	;; [unrolled: 2-line block ×4, first 2 shown]
	s_wait_dscnt 0x0
	s_barrier_signal -1
	s_barrier_wait -1
	ds_load_u8 v12, v0
	ds_load_u8 v13, v0 offset:256
	ds_load_u8 v14, v0 offset:512
	;; [unrolled: 1-line block ×6, first 2 shown]
	s_cmp_lg_u32 s4, 0
	s_wait_dscnt 0x0
	s_barrier_signal -1
	s_barrier_wait -1
	v_perm_b32 v16, v12, v13, 0xc0c0004
	v_perm_b32 v17, v14, v15, 0xc0c0004
	s_delay_alu instid0(VALU_DEP_1)
	v_lshl_or_b32 v16, v17, 16, v16
	s_cbranch_scc1 .LBB160_1
; %bb.2:
	s_add_nc_u64 s[0:1], s[0:1], s[2:3]
	s_delay_alu instid0(SALU_CYCLE_1)
	v_add_nc_u64_e32 v[0:1], s[0:1], v[0:1]
	s_clause 0x6
	global_store_b8 v[0:1], v12, off
	global_store_b8 v[0:1], v13, off offset:256
	global_store_b8 v[0:1], v14, off offset:512
	;; [unrolled: 1-line block ×6, first 2 shown]
	s_endpgm
	.section	.rodata,"a",@progbits
	.p2align	6, 0x0
	.amdhsa_kernel _Z6kernelI18scatter_to_stripedaLj256ELj7ELj100EEvPKT0_PKjPS1_
		.amdhsa_group_segment_fixed_size 1792
		.amdhsa_private_segment_fixed_size 0
		.amdhsa_kernarg_size 24
		.amdhsa_user_sgpr_count 2
		.amdhsa_user_sgpr_dispatch_ptr 0
		.amdhsa_user_sgpr_queue_ptr 0
		.amdhsa_user_sgpr_kernarg_segment_ptr 1
		.amdhsa_user_sgpr_dispatch_id 0
		.amdhsa_user_sgpr_kernarg_preload_length 0
		.amdhsa_user_sgpr_kernarg_preload_offset 0
		.amdhsa_user_sgpr_private_segment_size 0
		.amdhsa_wavefront_size32 1
		.amdhsa_uses_dynamic_stack 0
		.amdhsa_enable_private_segment 0
		.amdhsa_system_sgpr_workgroup_id_x 1
		.amdhsa_system_sgpr_workgroup_id_y 0
		.amdhsa_system_sgpr_workgroup_id_z 0
		.amdhsa_system_sgpr_workgroup_info 0
		.amdhsa_system_vgpr_workitem_id 0
		.amdhsa_next_free_vgpr 18
		.amdhsa_next_free_sgpr 10
		.amdhsa_named_barrier_count 0
		.amdhsa_reserve_vcc 0
		.amdhsa_float_round_mode_32 0
		.amdhsa_float_round_mode_16_64 0
		.amdhsa_float_denorm_mode_32 3
		.amdhsa_float_denorm_mode_16_64 3
		.amdhsa_fp16_overflow 0
		.amdhsa_memory_ordered 1
		.amdhsa_forward_progress 1
		.amdhsa_inst_pref_size 5
		.amdhsa_round_robin_scheduling 0
		.amdhsa_exception_fp_ieee_invalid_op 0
		.amdhsa_exception_fp_denorm_src 0
		.amdhsa_exception_fp_ieee_div_zero 0
		.amdhsa_exception_fp_ieee_overflow 0
		.amdhsa_exception_fp_ieee_underflow 0
		.amdhsa_exception_fp_ieee_inexact 0
		.amdhsa_exception_int_div_zero 0
	.end_amdhsa_kernel
	.section	.text._Z6kernelI18scatter_to_stripedaLj256ELj7ELj100EEvPKT0_PKjPS1_,"axG",@progbits,_Z6kernelI18scatter_to_stripedaLj256ELj7ELj100EEvPKT0_PKjPS1_,comdat
.Lfunc_end160:
	.size	_Z6kernelI18scatter_to_stripedaLj256ELj7ELj100EEvPKT0_PKjPS1_, .Lfunc_end160-_Z6kernelI18scatter_to_stripedaLj256ELj7ELj100EEvPKT0_PKjPS1_
                                        ; -- End function
	.set _Z6kernelI18scatter_to_stripedaLj256ELj7ELj100EEvPKT0_PKjPS1_.num_vgpr, 18
	.set _Z6kernelI18scatter_to_stripedaLj256ELj7ELj100EEvPKT0_PKjPS1_.num_agpr, 0
	.set _Z6kernelI18scatter_to_stripedaLj256ELj7ELj100EEvPKT0_PKjPS1_.numbered_sgpr, 10
	.set _Z6kernelI18scatter_to_stripedaLj256ELj7ELj100EEvPKT0_PKjPS1_.num_named_barrier, 0
	.set _Z6kernelI18scatter_to_stripedaLj256ELj7ELj100EEvPKT0_PKjPS1_.private_seg_size, 0
	.set _Z6kernelI18scatter_to_stripedaLj256ELj7ELj100EEvPKT0_PKjPS1_.uses_vcc, 0
	.set _Z6kernelI18scatter_to_stripedaLj256ELj7ELj100EEvPKT0_PKjPS1_.uses_flat_scratch, 0
	.set _Z6kernelI18scatter_to_stripedaLj256ELj7ELj100EEvPKT0_PKjPS1_.has_dyn_sized_stack, 0
	.set _Z6kernelI18scatter_to_stripedaLj256ELj7ELj100EEvPKT0_PKjPS1_.has_recursion, 0
	.set _Z6kernelI18scatter_to_stripedaLj256ELj7ELj100EEvPKT0_PKjPS1_.has_indirect_call, 0
	.section	.AMDGPU.csdata,"",@progbits
; Kernel info:
; codeLenInByte = 640
; TotalNumSgprs: 10
; NumVgprs: 18
; ScratchSize: 0
; MemoryBound: 0
; FloatMode: 240
; IeeeMode: 1
; LDSByteSize: 1792 bytes/workgroup (compile time only)
; SGPRBlocks: 0
; VGPRBlocks: 1
; NumSGPRsForWavesPerEU: 10
; NumVGPRsForWavesPerEU: 18
; NamedBarCnt: 0
; Occupancy: 16
; WaveLimiterHint : 1
; COMPUTE_PGM_RSRC2:SCRATCH_EN: 0
; COMPUTE_PGM_RSRC2:USER_SGPR: 2
; COMPUTE_PGM_RSRC2:TRAP_HANDLER: 0
; COMPUTE_PGM_RSRC2:TGID_X_EN: 1
; COMPUTE_PGM_RSRC2:TGID_Y_EN: 0
; COMPUTE_PGM_RSRC2:TGID_Z_EN: 0
; COMPUTE_PGM_RSRC2:TIDIG_COMP_CNT: 0
	.section	.text._Z6kernelI18scatter_to_stripedaLj256ELj8ELj100EEvPKT0_PKjPS1_,"axG",@progbits,_Z6kernelI18scatter_to_stripedaLj256ELj8ELj100EEvPKT0_PKjPS1_,comdat
	.protected	_Z6kernelI18scatter_to_stripedaLj256ELj8ELj100EEvPKT0_PKjPS1_ ; -- Begin function _Z6kernelI18scatter_to_stripedaLj256ELj8ELj100EEvPKT0_PKjPS1_
	.globl	_Z6kernelI18scatter_to_stripedaLj256ELj8ELj100EEvPKT0_PKjPS1_
	.p2align	8
	.type	_Z6kernelI18scatter_to_stripedaLj256ELj8ELj100EEvPKT0_PKjPS1_,@function
_Z6kernelI18scatter_to_stripedaLj256ELj8ELj100EEvPKT0_PKjPS1_: ; @_Z6kernelI18scatter_to_stripedaLj256ELj8ELj100EEvPKT0_PKjPS1_
; %bb.0:
	s_load_b128 s[4:7], s[0:1], 0x0
	s_bfe_u32 s2, ttmp6, 0x4000c
	s_and_b32 s3, ttmp6, 15
	s_add_co_i32 s2, s2, 1
	s_getreg_b32 s8, hwreg(HW_REG_IB_STS2, 6, 4)
	s_mul_i32 s2, ttmp9, s2
	s_wait_xcnt 0x0
	s_load_b64 s[0:1], s[0:1], 0x10
	s_add_co_i32 s3, s3, s2
	s_cmp_eq_u32 s8, 0
	s_cselect_b32 s2, ttmp9, s3
	s_mov_b32 s3, 0
	s_lshl_b32 s2, s2, 11
	s_delay_alu instid0(SALU_CYCLE_1)
	s_lshl_b64 s[8:9], s[2:3], 2
	s_wait_kmcnt 0x0
	s_add_nc_u64 s[4:5], s[4:5], s[2:3]
	s_clause 0x7
	global_load_u8 v1, v0, s[4:5] offset:256
	global_load_u8 v10, v0, s[4:5] offset:1536
	;; [unrolled: 1-line block ×4, first 2 shown]
	global_load_u8 v13, v0, s[4:5]
	global_load_u8 v14, v0, s[4:5] offset:768
	global_load_u8 v15, v0, s[4:5] offset:1280
	;; [unrolled: 1-line block ×3, first 2 shown]
	s_wait_xcnt 0x0
	s_add_nc_u64 s[4:5], s[6:7], s[8:9]
	s_clause 0x7
	global_load_b32 v2, v0, s[4:5] scale_offset
	global_load_b32 v3, v0, s[4:5] offset:1024 scale_offset
	global_load_b32 v4, v0, s[4:5] offset:2048 scale_offset
	global_load_b32 v5, v0, s[4:5] offset:3072 scale_offset
	global_load_b32 v6, v0, s[4:5] offset:4096 scale_offset
	global_load_b32 v7, v0, s[4:5] offset:5120 scale_offset
	global_load_b32 v8, v0, s[4:5] offset:6144 scale_offset
	global_load_b32 v9, v0, s[4:5] offset:7168 scale_offset
	s_wait_xcnt 0x0
	s_movk_i32 s4, 0x64
	s_wait_loadcnt 0xb
	v_perm_b32 v13, v13, v1, 0xc0c0004
	s_wait_loadcnt 0xa
	v_perm_b32 v12, v12, v14, 0xc0c0004
	;; [unrolled: 2-line block ×4, first 2 shown]
	v_mov_b32_e32 v1, 0
	v_lshl_or_b32 v19, v12, 16, v13
	s_delay_alu instid0(VALU_DEP_3)
	v_lshl_or_b32 v10, v10, 16, v11
.LBB161_1:                              ; =>This Inner Loop Header: Depth=1
	s_delay_alu instid0(VALU_DEP_2) | instskip(NEXT) | instid1(VALU_DEP_2)
	v_dual_lshrrev_b32 v11, 8, v19 :: v_dual_lshrrev_b32 v12, 24, v19
	v_lshrrev_b32_e32 v13, 8, v10
	s_wait_loadcnt 0x7
	ds_store_b8 v2, v19
	s_add_co_i32 s4, s4, -1
	s_wait_loadcnt 0x6
	ds_store_b8 v3, v11
	s_wait_loadcnt 0x5
	ds_store_b8_d16_hi v4, v19
	v_lshrrev_b32_e32 v11, 24, v10
	s_wait_loadcnt 0x4
	ds_store_b8 v5, v12
	s_wait_loadcnt 0x3
	ds_store_b8 v6, v10
	;; [unrolled: 2-line block ×3, first 2 shown]
	s_wait_loadcnt 0x1
	ds_store_b8_d16_hi v8, v10
	s_wait_loadcnt 0x0
	ds_store_b8 v9, v11
	s_wait_dscnt 0x0
	s_barrier_signal -1
	s_barrier_wait -1
	ds_load_u8 v11, v0
	ds_load_u8 v12, v0 offset:256
	ds_load_u8 v13, v0 offset:512
	;; [unrolled: 1-line block ×7, first 2 shown]
	s_cmp_lg_u32 s4, 0
	s_wait_dscnt 0x0
	s_barrier_signal -1
	s_barrier_wait -1
	v_perm_b32 v10, v11, v12, 0xc0c0004
	v_perm_b32 v19, v13, v14, 0xc0c0004
	;; [unrolled: 1-line block ×4, first 2 shown]
	s_delay_alu instid0(VALU_DEP_3) | instskip(NEXT) | instid1(VALU_DEP_2)
	v_lshl_or_b32 v19, v19, 16, v10
	v_lshl_or_b32 v10, v21, 16, v20
	s_cbranch_scc1 .LBB161_1
; %bb.2:
	s_add_nc_u64 s[0:1], s[0:1], s[2:3]
	s_delay_alu instid0(SALU_CYCLE_1)
	v_add_nc_u64_e32 v[0:1], s[0:1], v[0:1]
	s_clause 0x7
	global_store_b8 v[0:1], v11, off
	global_store_b8 v[0:1], v12, off offset:256
	global_store_b8 v[0:1], v13, off offset:512
	;; [unrolled: 1-line block ×7, first 2 shown]
	s_endpgm
	.section	.rodata,"a",@progbits
	.p2align	6, 0x0
	.amdhsa_kernel _Z6kernelI18scatter_to_stripedaLj256ELj8ELj100EEvPKT0_PKjPS1_
		.amdhsa_group_segment_fixed_size 2112
		.amdhsa_private_segment_fixed_size 0
		.amdhsa_kernarg_size 24
		.amdhsa_user_sgpr_count 2
		.amdhsa_user_sgpr_dispatch_ptr 0
		.amdhsa_user_sgpr_queue_ptr 0
		.amdhsa_user_sgpr_kernarg_segment_ptr 1
		.amdhsa_user_sgpr_dispatch_id 0
		.amdhsa_user_sgpr_kernarg_preload_length 0
		.amdhsa_user_sgpr_kernarg_preload_offset 0
		.amdhsa_user_sgpr_private_segment_size 0
		.amdhsa_wavefront_size32 1
		.amdhsa_uses_dynamic_stack 0
		.amdhsa_enable_private_segment 0
		.amdhsa_system_sgpr_workgroup_id_x 1
		.amdhsa_system_sgpr_workgroup_id_y 0
		.amdhsa_system_sgpr_workgroup_id_z 0
		.amdhsa_system_sgpr_workgroup_info 0
		.amdhsa_system_vgpr_workitem_id 0
		.amdhsa_next_free_vgpr 22
		.amdhsa_next_free_sgpr 10
		.amdhsa_named_barrier_count 0
		.amdhsa_reserve_vcc 0
		.amdhsa_float_round_mode_32 0
		.amdhsa_float_round_mode_16_64 0
		.amdhsa_float_denorm_mode_32 3
		.amdhsa_float_denorm_mode_16_64 3
		.amdhsa_fp16_overflow 0
		.amdhsa_memory_ordered 1
		.amdhsa_forward_progress 1
		.amdhsa_inst_pref_size 7
		.amdhsa_round_robin_scheduling 0
		.amdhsa_exception_fp_ieee_invalid_op 0
		.amdhsa_exception_fp_denorm_src 0
		.amdhsa_exception_fp_ieee_div_zero 0
		.amdhsa_exception_fp_ieee_overflow 0
		.amdhsa_exception_fp_ieee_underflow 0
		.amdhsa_exception_fp_ieee_inexact 0
		.amdhsa_exception_int_div_zero 0
	.end_amdhsa_kernel
	.section	.text._Z6kernelI18scatter_to_stripedaLj256ELj8ELj100EEvPKT0_PKjPS1_,"axG",@progbits,_Z6kernelI18scatter_to_stripedaLj256ELj8ELj100EEvPKT0_PKjPS1_,comdat
.Lfunc_end161:
	.size	_Z6kernelI18scatter_to_stripedaLj256ELj8ELj100EEvPKT0_PKjPS1_, .Lfunc_end161-_Z6kernelI18scatter_to_stripedaLj256ELj8ELj100EEvPKT0_PKjPS1_
                                        ; -- End function
	.set _Z6kernelI18scatter_to_stripedaLj256ELj8ELj100EEvPKT0_PKjPS1_.num_vgpr, 22
	.set _Z6kernelI18scatter_to_stripedaLj256ELj8ELj100EEvPKT0_PKjPS1_.num_agpr, 0
	.set _Z6kernelI18scatter_to_stripedaLj256ELj8ELj100EEvPKT0_PKjPS1_.numbered_sgpr, 10
	.set _Z6kernelI18scatter_to_stripedaLj256ELj8ELj100EEvPKT0_PKjPS1_.num_named_barrier, 0
	.set _Z6kernelI18scatter_to_stripedaLj256ELj8ELj100EEvPKT0_PKjPS1_.private_seg_size, 0
	.set _Z6kernelI18scatter_to_stripedaLj256ELj8ELj100EEvPKT0_PKjPS1_.uses_vcc, 0
	.set _Z6kernelI18scatter_to_stripedaLj256ELj8ELj100EEvPKT0_PKjPS1_.uses_flat_scratch, 0
	.set _Z6kernelI18scatter_to_stripedaLj256ELj8ELj100EEvPKT0_PKjPS1_.has_dyn_sized_stack, 0
	.set _Z6kernelI18scatter_to_stripedaLj256ELj8ELj100EEvPKT0_PKjPS1_.has_recursion, 0
	.set _Z6kernelI18scatter_to_stripedaLj256ELj8ELj100EEvPKT0_PKjPS1_.has_indirect_call, 0
	.section	.AMDGPU.csdata,"",@progbits
; Kernel info:
; codeLenInByte = 788
; TotalNumSgprs: 10
; NumVgprs: 22
; ScratchSize: 0
; MemoryBound: 0
; FloatMode: 240
; IeeeMode: 1
; LDSByteSize: 2112 bytes/workgroup (compile time only)
; SGPRBlocks: 0
; VGPRBlocks: 1
; NumSGPRsForWavesPerEU: 10
; NumVGPRsForWavesPerEU: 22
; NamedBarCnt: 0
; Occupancy: 16
; WaveLimiterHint : 1
; COMPUTE_PGM_RSRC2:SCRATCH_EN: 0
; COMPUTE_PGM_RSRC2:USER_SGPR: 2
; COMPUTE_PGM_RSRC2:TRAP_HANDLER: 0
; COMPUTE_PGM_RSRC2:TGID_X_EN: 1
; COMPUTE_PGM_RSRC2:TGID_Y_EN: 0
; COMPUTE_PGM_RSRC2:TGID_Z_EN: 0
; COMPUTE_PGM_RSRC2:TIDIG_COMP_CNT: 0
	.section	.text._Z6kernelI18scatter_to_stripedxLj256ELj1ELj100EEvPKT0_PKjPS1_,"axG",@progbits,_Z6kernelI18scatter_to_stripedxLj256ELj1ELj100EEvPKT0_PKjPS1_,comdat
	.protected	_Z6kernelI18scatter_to_stripedxLj256ELj1ELj100EEvPKT0_PKjPS1_ ; -- Begin function _Z6kernelI18scatter_to_stripedxLj256ELj1ELj100EEvPKT0_PKjPS1_
	.globl	_Z6kernelI18scatter_to_stripedxLj256ELj1ELj100EEvPKT0_PKjPS1_
	.p2align	8
	.type	_Z6kernelI18scatter_to_stripedxLj256ELj1ELj100EEvPKT0_PKjPS1_,@function
_Z6kernelI18scatter_to_stripedxLj256ELj1ELj100EEvPKT0_PKjPS1_: ; @_Z6kernelI18scatter_to_stripedxLj256ELj1ELj100EEvPKT0_PKjPS1_
; %bb.0:
	s_load_b128 s[4:7], s[0:1], 0x0
	s_bfe_u32 s2, ttmp6, 0x4000c
	s_and_b32 s3, ttmp6, 15
	s_add_co_i32 s2, s2, 1
	s_getreg_b32 s8, hwreg(HW_REG_IB_STS2, 6, 4)
	s_mul_i32 s2, ttmp9, s2
	s_wait_xcnt 0x0
	s_load_b64 s[0:1], s[0:1], 0x10
	s_add_co_i32 s3, s3, s2
	s_cmp_eq_u32 s8, 0
	v_lshlrev_b32_e32 v4, 3, v0
	s_cselect_b32 s2, ttmp9, s3
	s_mov_b32 s3, 0
	s_lshl_b32 s2, s2, 8
	s_delay_alu instid0(SALU_CYCLE_1)
	s_lshl_b64 s[8:9], s[2:3], 2
	s_lshl_b64 s[2:3], s[2:3], 3
	s_wait_kmcnt 0x0
	s_add_nc_u64 s[6:7], s[6:7], s[8:9]
	s_add_nc_u64 s[4:5], s[4:5], s[2:3]
	s_clause 0x1
	global_load_b32 v1, v0, s[6:7] scale_offset
	global_load_b64 v[2:3], v0, s[4:5] scale_offset
	s_wait_xcnt 0x0
	s_movk_i32 s4, 0x64
	s_wait_loadcnt 0x1
	v_lshlrev_b32_e32 v1, 3, v1
.LBB162_1:                              ; =>This Inner Loop Header: Depth=1
	s_wait_loadcnt 0x0
	ds_store_b64 v1, v[2:3]
	s_wait_dscnt 0x0
	s_barrier_signal -1
	s_barrier_wait -1
	ds_load_b64 v[2:3], v4
	s_add_co_i32 s4, s4, -1
	s_wait_dscnt 0x0
	s_cmp_lg_u32 s4, 0
	s_barrier_signal -1
	s_barrier_wait -1
	s_cbranch_scc1 .LBB162_1
; %bb.2:
	s_add_nc_u64 s[0:1], s[0:1], s[2:3]
	global_store_b64 v0, v[2:3], s[0:1] scale_offset
	s_endpgm
	.section	.rodata,"a",@progbits
	.p2align	6, 0x0
	.amdhsa_kernel _Z6kernelI18scatter_to_stripedxLj256ELj1ELj100EEvPKT0_PKjPS1_
		.amdhsa_group_segment_fixed_size 2048
		.amdhsa_private_segment_fixed_size 0
		.amdhsa_kernarg_size 24
		.amdhsa_user_sgpr_count 2
		.amdhsa_user_sgpr_dispatch_ptr 0
		.amdhsa_user_sgpr_queue_ptr 0
		.amdhsa_user_sgpr_kernarg_segment_ptr 1
		.amdhsa_user_sgpr_dispatch_id 0
		.amdhsa_user_sgpr_kernarg_preload_length 0
		.amdhsa_user_sgpr_kernarg_preload_offset 0
		.amdhsa_user_sgpr_private_segment_size 0
		.amdhsa_wavefront_size32 1
		.amdhsa_uses_dynamic_stack 0
		.amdhsa_enable_private_segment 0
		.amdhsa_system_sgpr_workgroup_id_x 1
		.amdhsa_system_sgpr_workgroup_id_y 0
		.amdhsa_system_sgpr_workgroup_id_z 0
		.amdhsa_system_sgpr_workgroup_info 0
		.amdhsa_system_vgpr_workitem_id 0
		.amdhsa_next_free_vgpr 5
		.amdhsa_next_free_sgpr 10
		.amdhsa_named_barrier_count 0
		.amdhsa_reserve_vcc 0
		.amdhsa_float_round_mode_32 0
		.amdhsa_float_round_mode_16_64 0
		.amdhsa_float_denorm_mode_32 3
		.amdhsa_float_denorm_mode_16_64 3
		.amdhsa_fp16_overflow 0
		.amdhsa_memory_ordered 1
		.amdhsa_forward_progress 1
		.amdhsa_inst_pref_size 2
		.amdhsa_round_robin_scheduling 0
		.amdhsa_exception_fp_ieee_invalid_op 0
		.amdhsa_exception_fp_denorm_src 0
		.amdhsa_exception_fp_ieee_div_zero 0
		.amdhsa_exception_fp_ieee_overflow 0
		.amdhsa_exception_fp_ieee_underflow 0
		.amdhsa_exception_fp_ieee_inexact 0
		.amdhsa_exception_int_div_zero 0
	.end_amdhsa_kernel
	.section	.text._Z6kernelI18scatter_to_stripedxLj256ELj1ELj100EEvPKT0_PKjPS1_,"axG",@progbits,_Z6kernelI18scatter_to_stripedxLj256ELj1ELj100EEvPKT0_PKjPS1_,comdat
.Lfunc_end162:
	.size	_Z6kernelI18scatter_to_stripedxLj256ELj1ELj100EEvPKT0_PKjPS1_, .Lfunc_end162-_Z6kernelI18scatter_to_stripedxLj256ELj1ELj100EEvPKT0_PKjPS1_
                                        ; -- End function
	.set _Z6kernelI18scatter_to_stripedxLj256ELj1ELj100EEvPKT0_PKjPS1_.num_vgpr, 5
	.set _Z6kernelI18scatter_to_stripedxLj256ELj1ELj100EEvPKT0_PKjPS1_.num_agpr, 0
	.set _Z6kernelI18scatter_to_stripedxLj256ELj1ELj100EEvPKT0_PKjPS1_.numbered_sgpr, 10
	.set _Z6kernelI18scatter_to_stripedxLj256ELj1ELj100EEvPKT0_PKjPS1_.num_named_barrier, 0
	.set _Z6kernelI18scatter_to_stripedxLj256ELj1ELj100EEvPKT0_PKjPS1_.private_seg_size, 0
	.set _Z6kernelI18scatter_to_stripedxLj256ELj1ELj100EEvPKT0_PKjPS1_.uses_vcc, 0
	.set _Z6kernelI18scatter_to_stripedxLj256ELj1ELj100EEvPKT0_PKjPS1_.uses_flat_scratch, 0
	.set _Z6kernelI18scatter_to_stripedxLj256ELj1ELj100EEvPKT0_PKjPS1_.has_dyn_sized_stack, 0
	.set _Z6kernelI18scatter_to_stripedxLj256ELj1ELj100EEvPKT0_PKjPS1_.has_recursion, 0
	.set _Z6kernelI18scatter_to_stripedxLj256ELj1ELj100EEvPKT0_PKjPS1_.has_indirect_call, 0
	.section	.AMDGPU.csdata,"",@progbits
; Kernel info:
; codeLenInByte = 212
; TotalNumSgprs: 10
; NumVgprs: 5
; ScratchSize: 0
; MemoryBound: 0
; FloatMode: 240
; IeeeMode: 1
; LDSByteSize: 2048 bytes/workgroup (compile time only)
; SGPRBlocks: 0
; VGPRBlocks: 0
; NumSGPRsForWavesPerEU: 10
; NumVGPRsForWavesPerEU: 5
; NamedBarCnt: 0
; Occupancy: 16
; WaveLimiterHint : 0
; COMPUTE_PGM_RSRC2:SCRATCH_EN: 0
; COMPUTE_PGM_RSRC2:USER_SGPR: 2
; COMPUTE_PGM_RSRC2:TRAP_HANDLER: 0
; COMPUTE_PGM_RSRC2:TGID_X_EN: 1
; COMPUTE_PGM_RSRC2:TGID_Y_EN: 0
; COMPUTE_PGM_RSRC2:TGID_Z_EN: 0
; COMPUTE_PGM_RSRC2:TIDIG_COMP_CNT: 0
	.section	.text._Z6kernelI18scatter_to_stripedxLj256ELj2ELj100EEvPKT0_PKjPS1_,"axG",@progbits,_Z6kernelI18scatter_to_stripedxLj256ELj2ELj100EEvPKT0_PKjPS1_,comdat
	.protected	_Z6kernelI18scatter_to_stripedxLj256ELj2ELj100EEvPKT0_PKjPS1_ ; -- Begin function _Z6kernelI18scatter_to_stripedxLj256ELj2ELj100EEvPKT0_PKjPS1_
	.globl	_Z6kernelI18scatter_to_stripedxLj256ELj2ELj100EEvPKT0_PKjPS1_
	.p2align	8
	.type	_Z6kernelI18scatter_to_stripedxLj256ELj2ELj100EEvPKT0_PKjPS1_,@function
_Z6kernelI18scatter_to_stripedxLj256ELj2ELj100EEvPKT0_PKjPS1_: ; @_Z6kernelI18scatter_to_stripedxLj256ELj2ELj100EEvPKT0_PKjPS1_
; %bb.0:
	s_load_b128 s[4:7], s[0:1], 0x0
	s_bfe_u32 s2, ttmp6, 0x4000c
	s_and_b32 s3, ttmp6, 15
	s_add_co_i32 s2, s2, 1
	s_getreg_b32 s8, hwreg(HW_REG_IB_STS2, 6, 4)
	s_mul_i32 s2, ttmp9, s2
	s_wait_xcnt 0x0
	s_load_b64 s[0:1], s[0:1], 0x10
	s_add_co_i32 s3, s3, s2
	s_cmp_eq_u32 s8, 0
	v_lshlrev_b32_e32 v7, 3, v0
	s_cselect_b32 s2, ttmp9, s3
	s_mov_b32 s3, 0
	s_lshl_b32 s2, s2, 9
	s_delay_alu instid0(SALU_CYCLE_1)
	s_lshl_b64 s[8:9], s[2:3], 2
	s_lshl_b64 s[2:3], s[2:3], 3
	s_wait_kmcnt 0x0
	s_add_nc_u64 s[6:7], s[6:7], s[8:9]
	s_add_nc_u64 s[4:5], s[4:5], s[2:3]
	s_clause 0x3
	global_load_b32 v1, v0, s[6:7] scale_offset
	global_load_b32 v6, v0, s[6:7] offset:1024 scale_offset
	global_load_b64 v[2:3], v0, s[4:5] scale_offset
	global_load_b64 v[4:5], v0, s[4:5] offset:2048 scale_offset
	s_wait_xcnt 0x0
	s_movk_i32 s4, 0x64
	s_wait_loadcnt 0x2
	v_dual_lshlrev_b32 v1, 3, v1 :: v_dual_lshlrev_b32 v6, 3, v6
.LBB163_1:                              ; =>This Inner Loop Header: Depth=1
	s_wait_loadcnt 0x1
	ds_store_b64 v1, v[2:3]
	s_wait_loadcnt 0x0
	ds_store_b64 v6, v[4:5]
	s_wait_dscnt 0x0
	s_barrier_signal -1
	s_barrier_wait -1
	ds_load_2addr_stride64_b64 v[2:5], v7 offset1:4
	s_add_co_i32 s4, s4, -1
	s_wait_dscnt 0x0
	s_cmp_lg_u32 s4, 0
	s_barrier_signal -1
	s_barrier_wait -1
	s_cbranch_scc1 .LBB163_1
; %bb.2:
	s_add_nc_u64 s[0:1], s[0:1], s[2:3]
	s_clause 0x1
	global_store_b64 v0, v[2:3], s[0:1] scale_offset
	global_store_b64 v0, v[4:5], s[0:1] offset:2048 scale_offset
	s_endpgm
	.section	.rodata,"a",@progbits
	.p2align	6, 0x0
	.amdhsa_kernel _Z6kernelI18scatter_to_stripedxLj256ELj2ELj100EEvPKT0_PKjPS1_
		.amdhsa_group_segment_fixed_size 4224
		.amdhsa_private_segment_fixed_size 0
		.amdhsa_kernarg_size 24
		.amdhsa_user_sgpr_count 2
		.amdhsa_user_sgpr_dispatch_ptr 0
		.amdhsa_user_sgpr_queue_ptr 0
		.amdhsa_user_sgpr_kernarg_segment_ptr 1
		.amdhsa_user_sgpr_dispatch_id 0
		.amdhsa_user_sgpr_kernarg_preload_length 0
		.amdhsa_user_sgpr_kernarg_preload_offset 0
		.amdhsa_user_sgpr_private_segment_size 0
		.amdhsa_wavefront_size32 1
		.amdhsa_uses_dynamic_stack 0
		.amdhsa_enable_private_segment 0
		.amdhsa_system_sgpr_workgroup_id_x 1
		.amdhsa_system_sgpr_workgroup_id_y 0
		.amdhsa_system_sgpr_workgroup_id_z 0
		.amdhsa_system_sgpr_workgroup_info 0
		.amdhsa_system_vgpr_workitem_id 0
		.amdhsa_next_free_vgpr 8
		.amdhsa_next_free_sgpr 10
		.amdhsa_named_barrier_count 0
		.amdhsa_reserve_vcc 0
		.amdhsa_float_round_mode_32 0
		.amdhsa_float_round_mode_16_64 0
		.amdhsa_float_denorm_mode_32 3
		.amdhsa_float_denorm_mode_16_64 3
		.amdhsa_fp16_overflow 0
		.amdhsa_memory_ordered 1
		.amdhsa_forward_progress 1
		.amdhsa_inst_pref_size 3
		.amdhsa_round_robin_scheduling 0
		.amdhsa_exception_fp_ieee_invalid_op 0
		.amdhsa_exception_fp_denorm_src 0
		.amdhsa_exception_fp_ieee_div_zero 0
		.amdhsa_exception_fp_ieee_overflow 0
		.amdhsa_exception_fp_ieee_underflow 0
		.amdhsa_exception_fp_ieee_inexact 0
		.amdhsa_exception_int_div_zero 0
	.end_amdhsa_kernel
	.section	.text._Z6kernelI18scatter_to_stripedxLj256ELj2ELj100EEvPKT0_PKjPS1_,"axG",@progbits,_Z6kernelI18scatter_to_stripedxLj256ELj2ELj100EEvPKT0_PKjPS1_,comdat
.Lfunc_end163:
	.size	_Z6kernelI18scatter_to_stripedxLj256ELj2ELj100EEvPKT0_PKjPS1_, .Lfunc_end163-_Z6kernelI18scatter_to_stripedxLj256ELj2ELj100EEvPKT0_PKjPS1_
                                        ; -- End function
	.set _Z6kernelI18scatter_to_stripedxLj256ELj2ELj100EEvPKT0_PKjPS1_.num_vgpr, 8
	.set _Z6kernelI18scatter_to_stripedxLj256ELj2ELj100EEvPKT0_PKjPS1_.num_agpr, 0
	.set _Z6kernelI18scatter_to_stripedxLj256ELj2ELj100EEvPKT0_PKjPS1_.numbered_sgpr, 10
	.set _Z6kernelI18scatter_to_stripedxLj256ELj2ELj100EEvPKT0_PKjPS1_.num_named_barrier, 0
	.set _Z6kernelI18scatter_to_stripedxLj256ELj2ELj100EEvPKT0_PKjPS1_.private_seg_size, 0
	.set _Z6kernelI18scatter_to_stripedxLj256ELj2ELj100EEvPKT0_PKjPS1_.uses_vcc, 0
	.set _Z6kernelI18scatter_to_stripedxLj256ELj2ELj100EEvPKT0_PKjPS1_.uses_flat_scratch, 0
	.set _Z6kernelI18scatter_to_stripedxLj256ELj2ELj100EEvPKT0_PKjPS1_.has_dyn_sized_stack, 0
	.set _Z6kernelI18scatter_to_stripedxLj256ELj2ELj100EEvPKT0_PKjPS1_.has_recursion, 0
	.set _Z6kernelI18scatter_to_stripedxLj256ELj2ELj100EEvPKT0_PKjPS1_.has_indirect_call, 0
	.section	.AMDGPU.csdata,"",@progbits
; Kernel info:
; codeLenInByte = 272
; TotalNumSgprs: 10
; NumVgprs: 8
; ScratchSize: 0
; MemoryBound: 0
; FloatMode: 240
; IeeeMode: 1
; LDSByteSize: 4224 bytes/workgroup (compile time only)
; SGPRBlocks: 0
; VGPRBlocks: 0
; NumSGPRsForWavesPerEU: 10
; NumVGPRsForWavesPerEU: 8
; NamedBarCnt: 0
; Occupancy: 16
; WaveLimiterHint : 1
; COMPUTE_PGM_RSRC2:SCRATCH_EN: 0
; COMPUTE_PGM_RSRC2:USER_SGPR: 2
; COMPUTE_PGM_RSRC2:TRAP_HANDLER: 0
; COMPUTE_PGM_RSRC2:TGID_X_EN: 1
; COMPUTE_PGM_RSRC2:TGID_Y_EN: 0
; COMPUTE_PGM_RSRC2:TGID_Z_EN: 0
; COMPUTE_PGM_RSRC2:TIDIG_COMP_CNT: 0
	.section	.text._Z6kernelI18scatter_to_stripedxLj256ELj3ELj100EEvPKT0_PKjPS1_,"axG",@progbits,_Z6kernelI18scatter_to_stripedxLj256ELj3ELj100EEvPKT0_PKjPS1_,comdat
	.protected	_Z6kernelI18scatter_to_stripedxLj256ELj3ELj100EEvPKT0_PKjPS1_ ; -- Begin function _Z6kernelI18scatter_to_stripedxLj256ELj3ELj100EEvPKT0_PKjPS1_
	.globl	_Z6kernelI18scatter_to_stripedxLj256ELj3ELj100EEvPKT0_PKjPS1_
	.p2align	8
	.type	_Z6kernelI18scatter_to_stripedxLj256ELj3ELj100EEvPKT0_PKjPS1_,@function
_Z6kernelI18scatter_to_stripedxLj256ELj3ELj100EEvPKT0_PKjPS1_: ; @_Z6kernelI18scatter_to_stripedxLj256ELj3ELj100EEvPKT0_PKjPS1_
; %bb.0:
	s_load_b128 s[4:7], s[0:1], 0x0
	s_bfe_u32 s2, ttmp6, 0x4000c
	s_and_b32 s3, ttmp6, 15
	s_add_co_i32 s2, s2, 1
	s_getreg_b32 s8, hwreg(HW_REG_IB_STS2, 6, 4)
	s_mul_i32 s2, ttmp9, s2
	s_wait_xcnt 0x0
	s_load_b64 s[0:1], s[0:1], 0x10
	s_add_co_i32 s3, s3, s2
	s_cmp_eq_u32 s8, 0
	v_lshlrev_b32_e32 v10, 3, v0
	s_cselect_b32 s2, ttmp9, s3
	s_mov_b32 s3, 0
	s_mulk_i32 s2, 0x300
	s_delay_alu instid0(SALU_CYCLE_1)
	s_lshl_b64 s[8:9], s[2:3], 2
	s_lshl_b64 s[2:3], s[2:3], 3
	s_wait_kmcnt 0x0
	s_add_nc_u64 s[6:7], s[6:7], s[8:9]
	s_clause 0x2
	global_load_b32 v1, v0, s[6:7] scale_offset
	global_load_b32 v8, v0, s[6:7] offset:1024 scale_offset
	global_load_b32 v9, v0, s[6:7] offset:2048 scale_offset
	s_add_nc_u64 s[4:5], s[4:5], s[2:3]
	s_clause 0x2
	global_load_b64 v[2:3], v0, s[4:5] scale_offset
	global_load_b64 v[4:5], v0, s[4:5] offset:2048 scale_offset
	global_load_b64 v[6:7], v0, s[4:5] offset:4096 scale_offset
	s_wait_xcnt 0x0
	s_movk_i32 s4, 0x64
	s_wait_loadcnt 0x4
	v_dual_lshlrev_b32 v1, 3, v1 :: v_dual_lshlrev_b32 v8, 3, v8
	s_wait_loadcnt 0x3
	v_lshlrev_b32_e32 v9, 3, v9
.LBB164_1:                              ; =>This Inner Loop Header: Depth=1
	s_wait_loadcnt 0x2
	ds_store_b64 v1, v[2:3]
	s_wait_loadcnt 0x1
	ds_store_b64 v8, v[4:5]
	;; [unrolled: 2-line block ×3, first 2 shown]
	s_wait_dscnt 0x0
	s_barrier_signal -1
	s_barrier_wait -1
	ds_load_2addr_stride64_b64 v[2:5], v10 offset1:4
	ds_load_b64 v[6:7], v10 offset:4096
	s_add_co_i32 s4, s4, -1
	s_wait_dscnt 0x0
	s_cmp_lg_u32 s4, 0
	s_barrier_signal -1
	s_barrier_wait -1
	s_cbranch_scc1 .LBB164_1
; %bb.2:
	s_add_nc_u64 s[0:1], s[0:1], s[2:3]
	s_clause 0x2
	global_store_b64 v0, v[2:3], s[0:1] scale_offset
	global_store_b64 v0, v[4:5], s[0:1] offset:2048 scale_offset
	global_store_b64 v0, v[6:7], s[0:1] offset:4096 scale_offset
	s_endpgm
	.section	.rodata,"a",@progbits
	.p2align	6, 0x0
	.amdhsa_kernel _Z6kernelI18scatter_to_stripedxLj256ELj3ELj100EEvPKT0_PKjPS1_
		.amdhsa_group_segment_fixed_size 6144
		.amdhsa_private_segment_fixed_size 0
		.amdhsa_kernarg_size 24
		.amdhsa_user_sgpr_count 2
		.amdhsa_user_sgpr_dispatch_ptr 0
		.amdhsa_user_sgpr_queue_ptr 0
		.amdhsa_user_sgpr_kernarg_segment_ptr 1
		.amdhsa_user_sgpr_dispatch_id 0
		.amdhsa_user_sgpr_kernarg_preload_length 0
		.amdhsa_user_sgpr_kernarg_preload_offset 0
		.amdhsa_user_sgpr_private_segment_size 0
		.amdhsa_wavefront_size32 1
		.amdhsa_uses_dynamic_stack 0
		.amdhsa_enable_private_segment 0
		.amdhsa_system_sgpr_workgroup_id_x 1
		.amdhsa_system_sgpr_workgroup_id_y 0
		.amdhsa_system_sgpr_workgroup_id_z 0
		.amdhsa_system_sgpr_workgroup_info 0
		.amdhsa_system_vgpr_workitem_id 0
		.amdhsa_next_free_vgpr 11
		.amdhsa_next_free_sgpr 10
		.amdhsa_named_barrier_count 0
		.amdhsa_reserve_vcc 0
		.amdhsa_float_round_mode_32 0
		.amdhsa_float_round_mode_16_64 0
		.amdhsa_float_denorm_mode_32 3
		.amdhsa_float_denorm_mode_16_64 3
		.amdhsa_fp16_overflow 0
		.amdhsa_memory_ordered 1
		.amdhsa_forward_progress 1
		.amdhsa_inst_pref_size 3
		.amdhsa_round_robin_scheduling 0
		.amdhsa_exception_fp_ieee_invalid_op 0
		.amdhsa_exception_fp_denorm_src 0
		.amdhsa_exception_fp_ieee_div_zero 0
		.amdhsa_exception_fp_ieee_overflow 0
		.amdhsa_exception_fp_ieee_underflow 0
		.amdhsa_exception_fp_ieee_inexact 0
		.amdhsa_exception_int_div_zero 0
	.end_amdhsa_kernel
	.section	.text._Z6kernelI18scatter_to_stripedxLj256ELj3ELj100EEvPKT0_PKjPS1_,"axG",@progbits,_Z6kernelI18scatter_to_stripedxLj256ELj3ELj100EEvPKT0_PKjPS1_,comdat
.Lfunc_end164:
	.size	_Z6kernelI18scatter_to_stripedxLj256ELj3ELj100EEvPKT0_PKjPS1_, .Lfunc_end164-_Z6kernelI18scatter_to_stripedxLj256ELj3ELj100EEvPKT0_PKjPS1_
                                        ; -- End function
	.set _Z6kernelI18scatter_to_stripedxLj256ELj3ELj100EEvPKT0_PKjPS1_.num_vgpr, 11
	.set _Z6kernelI18scatter_to_stripedxLj256ELj3ELj100EEvPKT0_PKjPS1_.num_agpr, 0
	.set _Z6kernelI18scatter_to_stripedxLj256ELj3ELj100EEvPKT0_PKjPS1_.numbered_sgpr, 10
	.set _Z6kernelI18scatter_to_stripedxLj256ELj3ELj100EEvPKT0_PKjPS1_.num_named_barrier, 0
	.set _Z6kernelI18scatter_to_stripedxLj256ELj3ELj100EEvPKT0_PKjPS1_.private_seg_size, 0
	.set _Z6kernelI18scatter_to_stripedxLj256ELj3ELj100EEvPKT0_PKjPS1_.uses_vcc, 0
	.set _Z6kernelI18scatter_to_stripedxLj256ELj3ELj100EEvPKT0_PKjPS1_.uses_flat_scratch, 0
	.set _Z6kernelI18scatter_to_stripedxLj256ELj3ELj100EEvPKT0_PKjPS1_.has_dyn_sized_stack, 0
	.set _Z6kernelI18scatter_to_stripedxLj256ELj3ELj100EEvPKT0_PKjPS1_.has_recursion, 0
	.set _Z6kernelI18scatter_to_stripedxLj256ELj3ELj100EEvPKT0_PKjPS1_.has_indirect_call, 0
	.section	.AMDGPU.csdata,"",@progbits
; Kernel info:
; codeLenInByte = 340
; TotalNumSgprs: 10
; NumVgprs: 11
; ScratchSize: 0
; MemoryBound: 0
; FloatMode: 240
; IeeeMode: 1
; LDSByteSize: 6144 bytes/workgroup (compile time only)
; SGPRBlocks: 0
; VGPRBlocks: 0
; NumSGPRsForWavesPerEU: 10
; NumVGPRsForWavesPerEU: 11
; NamedBarCnt: 0
; Occupancy: 16
; WaveLimiterHint : 1
; COMPUTE_PGM_RSRC2:SCRATCH_EN: 0
; COMPUTE_PGM_RSRC2:USER_SGPR: 2
; COMPUTE_PGM_RSRC2:TRAP_HANDLER: 0
; COMPUTE_PGM_RSRC2:TGID_X_EN: 1
; COMPUTE_PGM_RSRC2:TGID_Y_EN: 0
; COMPUTE_PGM_RSRC2:TGID_Z_EN: 0
; COMPUTE_PGM_RSRC2:TIDIG_COMP_CNT: 0
	.section	.text._Z6kernelI18scatter_to_stripedxLj256ELj4ELj100EEvPKT0_PKjPS1_,"axG",@progbits,_Z6kernelI18scatter_to_stripedxLj256ELj4ELj100EEvPKT0_PKjPS1_,comdat
	.protected	_Z6kernelI18scatter_to_stripedxLj256ELj4ELj100EEvPKT0_PKjPS1_ ; -- Begin function _Z6kernelI18scatter_to_stripedxLj256ELj4ELj100EEvPKT0_PKjPS1_
	.globl	_Z6kernelI18scatter_to_stripedxLj256ELj4ELj100EEvPKT0_PKjPS1_
	.p2align	8
	.type	_Z6kernelI18scatter_to_stripedxLj256ELj4ELj100EEvPKT0_PKjPS1_,@function
_Z6kernelI18scatter_to_stripedxLj256ELj4ELj100EEvPKT0_PKjPS1_: ; @_Z6kernelI18scatter_to_stripedxLj256ELj4ELj100EEvPKT0_PKjPS1_
; %bb.0:
	s_load_b128 s[4:7], s[0:1], 0x0
	s_bfe_u32 s2, ttmp6, 0x4000c
	s_and_b32 s3, ttmp6, 15
	s_add_co_i32 s2, s2, 1
	s_getreg_b32 s8, hwreg(HW_REG_IB_STS2, 6, 4)
	s_mul_i32 s2, ttmp9, s2
	s_wait_xcnt 0x0
	s_load_b64 s[0:1], s[0:1], 0x10
	s_add_co_i32 s3, s3, s2
	s_cmp_eq_u32 s8, 0
	v_lshlrev_b32_e32 v13, 3, v0
	s_cselect_b32 s2, ttmp9, s3
	s_mov_b32 s3, 0
	s_lshl_b32 s2, s2, 10
	s_delay_alu instid0(SALU_CYCLE_1)
	s_lshl_b64 s[8:9], s[2:3], 2
	s_lshl_b64 s[2:3], s[2:3], 3
	s_wait_kmcnt 0x0
	s_add_nc_u64 s[6:7], s[6:7], s[8:9]
	s_add_nc_u64 s[4:5], s[4:5], s[2:3]
	s_clause 0x7
	global_load_b32 v1, v0, s[6:7] scale_offset
	global_load_b32 v10, v0, s[6:7] offset:1024 scale_offset
	global_load_b32 v11, v0, s[6:7] offset:2048 scale_offset
	;; [unrolled: 1-line block ×3, first 2 shown]
	global_load_b64 v[2:3], v0, s[4:5] scale_offset
	global_load_b64 v[4:5], v0, s[4:5] offset:2048 scale_offset
	global_load_b64 v[6:7], v0, s[4:5] offset:4096 scale_offset
	;; [unrolled: 1-line block ×3, first 2 shown]
	s_wait_xcnt 0x0
	s_movk_i32 s4, 0x64
	s_wait_loadcnt 0x6
	v_dual_lshlrev_b32 v1, 3, v1 :: v_dual_lshlrev_b32 v10, 3, v10
	s_wait_loadcnt 0x4
	v_dual_lshlrev_b32 v11, 3, v11 :: v_dual_lshlrev_b32 v12, 3, v12
.LBB165_1:                              ; =>This Inner Loop Header: Depth=1
	s_wait_loadcnt 0x3
	ds_store_b64 v1, v[2:3]
	s_wait_loadcnt 0x2
	ds_store_b64 v10, v[4:5]
	s_wait_loadcnt 0x1
	ds_store_b64 v11, v[6:7]
	s_wait_loadcnt 0x0
	ds_store_b64 v12, v[8:9]
	s_wait_dscnt 0x0
	s_barrier_signal -1
	s_barrier_wait -1
	ds_load_2addr_stride64_b64 v[2:5], v13 offset1:4
	ds_load_2addr_stride64_b64 v[6:9], v13 offset0:8 offset1:12
	s_add_co_i32 s4, s4, -1
	s_wait_dscnt 0x0
	s_cmp_lg_u32 s4, 0
	s_barrier_signal -1
	s_barrier_wait -1
	s_cbranch_scc1 .LBB165_1
; %bb.2:
	s_add_nc_u64 s[0:1], s[0:1], s[2:3]
	s_clause 0x3
	global_store_b64 v0, v[2:3], s[0:1] scale_offset
	global_store_b64 v0, v[4:5], s[0:1] offset:2048 scale_offset
	global_store_b64 v0, v[6:7], s[0:1] offset:4096 scale_offset
	;; [unrolled: 1-line block ×3, first 2 shown]
	s_endpgm
	.section	.rodata,"a",@progbits
	.p2align	6, 0x0
	.amdhsa_kernel _Z6kernelI18scatter_to_stripedxLj256ELj4ELj100EEvPKT0_PKjPS1_
		.amdhsa_group_segment_fixed_size 8448
		.amdhsa_private_segment_fixed_size 0
		.amdhsa_kernarg_size 24
		.amdhsa_user_sgpr_count 2
		.amdhsa_user_sgpr_dispatch_ptr 0
		.amdhsa_user_sgpr_queue_ptr 0
		.amdhsa_user_sgpr_kernarg_segment_ptr 1
		.amdhsa_user_sgpr_dispatch_id 0
		.amdhsa_user_sgpr_kernarg_preload_length 0
		.amdhsa_user_sgpr_kernarg_preload_offset 0
		.amdhsa_user_sgpr_private_segment_size 0
		.amdhsa_wavefront_size32 1
		.amdhsa_uses_dynamic_stack 0
		.amdhsa_enable_private_segment 0
		.amdhsa_system_sgpr_workgroup_id_x 1
		.amdhsa_system_sgpr_workgroup_id_y 0
		.amdhsa_system_sgpr_workgroup_id_z 0
		.amdhsa_system_sgpr_workgroup_info 0
		.amdhsa_system_vgpr_workitem_id 0
		.amdhsa_next_free_vgpr 14
		.amdhsa_next_free_sgpr 10
		.amdhsa_named_barrier_count 0
		.amdhsa_reserve_vcc 0
		.amdhsa_float_round_mode_32 0
		.amdhsa_float_round_mode_16_64 0
		.amdhsa_float_denorm_mode_32 3
		.amdhsa_float_denorm_mode_16_64 3
		.amdhsa_fp16_overflow 0
		.amdhsa_memory_ordered 1
		.amdhsa_forward_progress 1
		.amdhsa_inst_pref_size 4
		.amdhsa_round_robin_scheduling 0
		.amdhsa_exception_fp_ieee_invalid_op 0
		.amdhsa_exception_fp_denorm_src 0
		.amdhsa_exception_fp_ieee_div_zero 0
		.amdhsa_exception_fp_ieee_overflow 0
		.amdhsa_exception_fp_ieee_underflow 0
		.amdhsa_exception_fp_ieee_inexact 0
		.amdhsa_exception_int_div_zero 0
	.end_amdhsa_kernel
	.section	.text._Z6kernelI18scatter_to_stripedxLj256ELj4ELj100EEvPKT0_PKjPS1_,"axG",@progbits,_Z6kernelI18scatter_to_stripedxLj256ELj4ELj100EEvPKT0_PKjPS1_,comdat
.Lfunc_end165:
	.size	_Z6kernelI18scatter_to_stripedxLj256ELj4ELj100EEvPKT0_PKjPS1_, .Lfunc_end165-_Z6kernelI18scatter_to_stripedxLj256ELj4ELj100EEvPKT0_PKjPS1_
                                        ; -- End function
	.set _Z6kernelI18scatter_to_stripedxLj256ELj4ELj100EEvPKT0_PKjPS1_.num_vgpr, 14
	.set _Z6kernelI18scatter_to_stripedxLj256ELj4ELj100EEvPKT0_PKjPS1_.num_agpr, 0
	.set _Z6kernelI18scatter_to_stripedxLj256ELj4ELj100EEvPKT0_PKjPS1_.numbered_sgpr, 10
	.set _Z6kernelI18scatter_to_stripedxLj256ELj4ELj100EEvPKT0_PKjPS1_.num_named_barrier, 0
	.set _Z6kernelI18scatter_to_stripedxLj256ELj4ELj100EEvPKT0_PKjPS1_.private_seg_size, 0
	.set _Z6kernelI18scatter_to_stripedxLj256ELj4ELj100EEvPKT0_PKjPS1_.uses_vcc, 0
	.set _Z6kernelI18scatter_to_stripedxLj256ELj4ELj100EEvPKT0_PKjPS1_.uses_flat_scratch, 0
	.set _Z6kernelI18scatter_to_stripedxLj256ELj4ELj100EEvPKT0_PKjPS1_.has_dyn_sized_stack, 0
	.set _Z6kernelI18scatter_to_stripedxLj256ELj4ELj100EEvPKT0_PKjPS1_.has_recursion, 0
	.set _Z6kernelI18scatter_to_stripedxLj256ELj4ELj100EEvPKT0_PKjPS1_.has_indirect_call, 0
	.section	.AMDGPU.csdata,"",@progbits
; Kernel info:
; codeLenInByte = 392
; TotalNumSgprs: 10
; NumVgprs: 14
; ScratchSize: 0
; MemoryBound: 0
; FloatMode: 240
; IeeeMode: 1
; LDSByteSize: 8448 bytes/workgroup (compile time only)
; SGPRBlocks: 0
; VGPRBlocks: 0
; NumSGPRsForWavesPerEU: 10
; NumVGPRsForWavesPerEU: 14
; NamedBarCnt: 0
; Occupancy: 16
; WaveLimiterHint : 1
; COMPUTE_PGM_RSRC2:SCRATCH_EN: 0
; COMPUTE_PGM_RSRC2:USER_SGPR: 2
; COMPUTE_PGM_RSRC2:TRAP_HANDLER: 0
; COMPUTE_PGM_RSRC2:TGID_X_EN: 1
; COMPUTE_PGM_RSRC2:TGID_Y_EN: 0
; COMPUTE_PGM_RSRC2:TGID_Z_EN: 0
; COMPUTE_PGM_RSRC2:TIDIG_COMP_CNT: 0
	.section	.text._Z6kernelI18scatter_to_stripedxLj256ELj7ELj100EEvPKT0_PKjPS1_,"axG",@progbits,_Z6kernelI18scatter_to_stripedxLj256ELj7ELj100EEvPKT0_PKjPS1_,comdat
	.protected	_Z6kernelI18scatter_to_stripedxLj256ELj7ELj100EEvPKT0_PKjPS1_ ; -- Begin function _Z6kernelI18scatter_to_stripedxLj256ELj7ELj100EEvPKT0_PKjPS1_
	.globl	_Z6kernelI18scatter_to_stripedxLj256ELj7ELj100EEvPKT0_PKjPS1_
	.p2align	8
	.type	_Z6kernelI18scatter_to_stripedxLj256ELj7ELj100EEvPKT0_PKjPS1_,@function
_Z6kernelI18scatter_to_stripedxLj256ELj7ELj100EEvPKT0_PKjPS1_: ; @_Z6kernelI18scatter_to_stripedxLj256ELj7ELj100EEvPKT0_PKjPS1_
; %bb.0:
	s_load_b128 s[4:7], s[0:1], 0x0
	s_bfe_u32 s2, ttmp6, 0x4000c
	s_and_b32 s3, ttmp6, 15
	s_add_co_i32 s2, s2, 1
	s_getreg_b32 s8, hwreg(HW_REG_IB_STS2, 6, 4)
	s_mul_i32 s2, ttmp9, s2
	s_wait_xcnt 0x0
	s_load_b64 s[0:1], s[0:1], 0x10
	s_add_co_i32 s3, s3, s2
	s_cmp_eq_u32 s8, 0
	v_lshlrev_b32_e32 v22, 3, v0
	s_cselect_b32 s2, ttmp9, s3
	s_mov_b32 s3, 0
	s_mulk_i32 s2, 0x700
	s_delay_alu instid0(SALU_CYCLE_1)
	s_lshl_b64 s[8:9], s[2:3], 2
	s_lshl_b64 s[2:3], s[2:3], 3
	s_wait_kmcnt 0x0
	s_add_nc_u64 s[6:7], s[6:7], s[8:9]
	s_add_nc_u64 s[4:5], s[4:5], s[2:3]
	s_clause 0xd
	global_load_b32 v1, v0, s[6:7] scale_offset
	global_load_b32 v16, v0, s[6:7] offset:1024 scale_offset
	global_load_b32 v17, v0, s[6:7] offset:2048 scale_offset
	;; [unrolled: 1-line block ×6, first 2 shown]
	global_load_b64 v[2:3], v0, s[4:5] offset:8192 scale_offset
	global_load_b64 v[4:5], v0, s[4:5] offset:10240 scale_offset
	;; [unrolled: 1-line block ×3, first 2 shown]
	global_load_b64 v[6:7], v0, s[4:5] scale_offset
	global_load_b64 v[8:9], v0, s[4:5] offset:2048 scale_offset
	global_load_b64 v[10:11], v0, s[4:5] offset:4096 scale_offset
	;; [unrolled: 1-line block ×3, first 2 shown]
	s_wait_xcnt 0x0
	s_movk_i32 s4, 0x64
	s_wait_loadcnt 0xc
	v_dual_lshlrev_b32 v1, 3, v1 :: v_dual_lshlrev_b32 v16, 3, v16
	s_wait_loadcnt 0xa
	v_dual_lshlrev_b32 v17, 3, v17 :: v_dual_lshlrev_b32 v18, 3, v18
	;; [unrolled: 2-line block ×3, first 2 shown]
	s_wait_loadcnt 0x7
	v_lshlrev_b32_e32 v21, 3, v21
.LBB166_1:                              ; =>This Inner Loop Header: Depth=1
	s_wait_loadcnt 0x3
	ds_store_b64 v1, v[6:7]
	s_wait_loadcnt 0x2
	ds_store_b64 v16, v[8:9]
	;; [unrolled: 2-line block ×4, first 2 shown]
	ds_store_b64 v19, v[2:3]
	ds_store_b64 v20, v[4:5]
	ds_store_b64 v21, v[14:15]
	s_wait_dscnt 0x0
	s_barrier_signal -1
	s_barrier_wait -1
	ds_load_2addr_stride64_b64 v[6:9], v22 offset1:4
	ds_load_2addr_stride64_b64 v[10:13], v22 offset0:8 offset1:12
	ds_load_2addr_stride64_b64 v[2:5], v22 offset0:16 offset1:20
	ds_load_b64 v[14:15], v22 offset:12288
	s_add_co_i32 s4, s4, -1
	s_wait_dscnt 0x0
	s_cmp_lg_u32 s4, 0
	s_barrier_signal -1
	s_barrier_wait -1
	s_cbranch_scc1 .LBB166_1
; %bb.2:
	s_add_nc_u64 s[0:1], s[0:1], s[2:3]
	s_clause 0x6
	global_store_b64 v0, v[6:7], s[0:1] scale_offset
	global_store_b64 v0, v[8:9], s[0:1] offset:2048 scale_offset
	global_store_b64 v0, v[10:11], s[0:1] offset:4096 scale_offset
	;; [unrolled: 1-line block ×6, first 2 shown]
	s_endpgm
	.section	.rodata,"a",@progbits
	.p2align	6, 0x0
	.amdhsa_kernel _Z6kernelI18scatter_to_stripedxLj256ELj7ELj100EEvPKT0_PKjPS1_
		.amdhsa_group_segment_fixed_size 14336
		.amdhsa_private_segment_fixed_size 0
		.amdhsa_kernarg_size 24
		.amdhsa_user_sgpr_count 2
		.amdhsa_user_sgpr_dispatch_ptr 0
		.amdhsa_user_sgpr_queue_ptr 0
		.amdhsa_user_sgpr_kernarg_segment_ptr 1
		.amdhsa_user_sgpr_dispatch_id 0
		.amdhsa_user_sgpr_kernarg_preload_length 0
		.amdhsa_user_sgpr_kernarg_preload_offset 0
		.amdhsa_user_sgpr_private_segment_size 0
		.amdhsa_wavefront_size32 1
		.amdhsa_uses_dynamic_stack 0
		.amdhsa_enable_private_segment 0
		.amdhsa_system_sgpr_workgroup_id_x 1
		.amdhsa_system_sgpr_workgroup_id_y 0
		.amdhsa_system_sgpr_workgroup_id_z 0
		.amdhsa_system_sgpr_workgroup_info 0
		.amdhsa_system_vgpr_workitem_id 0
		.amdhsa_next_free_vgpr 23
		.amdhsa_next_free_sgpr 10
		.amdhsa_named_barrier_count 0
		.amdhsa_reserve_vcc 0
		.amdhsa_float_round_mode_32 0
		.amdhsa_float_round_mode_16_64 0
		.amdhsa_float_denorm_mode_32 3
		.amdhsa_float_denorm_mode_16_64 3
		.amdhsa_fp16_overflow 0
		.amdhsa_memory_ordered 1
		.amdhsa_forward_progress 1
		.amdhsa_inst_pref_size 5
		.amdhsa_round_robin_scheduling 0
		.amdhsa_exception_fp_ieee_invalid_op 0
		.amdhsa_exception_fp_denorm_src 0
		.amdhsa_exception_fp_ieee_div_zero 0
		.amdhsa_exception_fp_ieee_overflow 0
		.amdhsa_exception_fp_ieee_underflow 0
		.amdhsa_exception_fp_ieee_inexact 0
		.amdhsa_exception_int_div_zero 0
	.end_amdhsa_kernel
	.section	.text._Z6kernelI18scatter_to_stripedxLj256ELj7ELj100EEvPKT0_PKjPS1_,"axG",@progbits,_Z6kernelI18scatter_to_stripedxLj256ELj7ELj100EEvPKT0_PKjPS1_,comdat
.Lfunc_end166:
	.size	_Z6kernelI18scatter_to_stripedxLj256ELj7ELj100EEvPKT0_PKjPS1_, .Lfunc_end166-_Z6kernelI18scatter_to_stripedxLj256ELj7ELj100EEvPKT0_PKjPS1_
                                        ; -- End function
	.set _Z6kernelI18scatter_to_stripedxLj256ELj7ELj100EEvPKT0_PKjPS1_.num_vgpr, 23
	.set _Z6kernelI18scatter_to_stripedxLj256ELj7ELj100EEvPKT0_PKjPS1_.num_agpr, 0
	.set _Z6kernelI18scatter_to_stripedxLj256ELj7ELj100EEvPKT0_PKjPS1_.numbered_sgpr, 10
	.set _Z6kernelI18scatter_to_stripedxLj256ELj7ELj100EEvPKT0_PKjPS1_.num_named_barrier, 0
	.set _Z6kernelI18scatter_to_stripedxLj256ELj7ELj100EEvPKT0_PKjPS1_.private_seg_size, 0
	.set _Z6kernelI18scatter_to_stripedxLj256ELj7ELj100EEvPKT0_PKjPS1_.uses_vcc, 0
	.set _Z6kernelI18scatter_to_stripedxLj256ELj7ELj100EEvPKT0_PKjPS1_.uses_flat_scratch, 0
	.set _Z6kernelI18scatter_to_stripedxLj256ELj7ELj100EEvPKT0_PKjPS1_.has_dyn_sized_stack, 0
	.set _Z6kernelI18scatter_to_stripedxLj256ELj7ELj100EEvPKT0_PKjPS1_.has_recursion, 0
	.set _Z6kernelI18scatter_to_stripedxLj256ELj7ELj100EEvPKT0_PKjPS1_.has_indirect_call, 0
	.section	.AMDGPU.csdata,"",@progbits
; Kernel info:
; codeLenInByte = 564
; TotalNumSgprs: 10
; NumVgprs: 23
; ScratchSize: 0
; MemoryBound: 1
; FloatMode: 240
; IeeeMode: 1
; LDSByteSize: 14336 bytes/workgroup (compile time only)
; SGPRBlocks: 0
; VGPRBlocks: 1
; NumSGPRsForWavesPerEU: 10
; NumVGPRsForWavesPerEU: 23
; NamedBarCnt: 0
; Occupancy: 16
; WaveLimiterHint : 1
; COMPUTE_PGM_RSRC2:SCRATCH_EN: 0
; COMPUTE_PGM_RSRC2:USER_SGPR: 2
; COMPUTE_PGM_RSRC2:TRAP_HANDLER: 0
; COMPUTE_PGM_RSRC2:TGID_X_EN: 1
; COMPUTE_PGM_RSRC2:TGID_Y_EN: 0
; COMPUTE_PGM_RSRC2:TGID_Z_EN: 0
; COMPUTE_PGM_RSRC2:TIDIG_COMP_CNT: 0
	.section	.text._Z6kernelI18scatter_to_stripedxLj256ELj8ELj100EEvPKT0_PKjPS1_,"axG",@progbits,_Z6kernelI18scatter_to_stripedxLj256ELj8ELj100EEvPKT0_PKjPS1_,comdat
	.protected	_Z6kernelI18scatter_to_stripedxLj256ELj8ELj100EEvPKT0_PKjPS1_ ; -- Begin function _Z6kernelI18scatter_to_stripedxLj256ELj8ELj100EEvPKT0_PKjPS1_
	.globl	_Z6kernelI18scatter_to_stripedxLj256ELj8ELj100EEvPKT0_PKjPS1_
	.p2align	8
	.type	_Z6kernelI18scatter_to_stripedxLj256ELj8ELj100EEvPKT0_PKjPS1_,@function
_Z6kernelI18scatter_to_stripedxLj256ELj8ELj100EEvPKT0_PKjPS1_: ; @_Z6kernelI18scatter_to_stripedxLj256ELj8ELj100EEvPKT0_PKjPS1_
; %bb.0:
	s_load_b128 s[4:7], s[0:1], 0x0
	s_bfe_u32 s2, ttmp6, 0x4000c
	s_and_b32 s3, ttmp6, 15
	s_add_co_i32 s2, s2, 1
	s_getreg_b32 s8, hwreg(HW_REG_IB_STS2, 6, 4)
	s_mul_i32 s2, ttmp9, s2
	s_wait_xcnt 0x0
	s_load_b64 s[0:1], s[0:1], 0x10
	s_add_co_i32 s3, s3, s2
	s_cmp_eq_u32 s8, 0
	v_lshlrev_b32_e32 v25, 3, v0
	s_cselect_b32 s2, ttmp9, s3
	s_mov_b32 s3, 0
	s_lshl_b32 s2, s2, 11
	s_delay_alu instid0(SALU_CYCLE_1)
	s_lshl_b64 s[8:9], s[2:3], 2
	s_lshl_b64 s[2:3], s[2:3], 3
	s_wait_kmcnt 0x0
	s_add_nc_u64 s[6:7], s[6:7], s[8:9]
	s_add_nc_u64 s[4:5], s[4:5], s[2:3]
	s_clause 0xf
	global_load_b32 v1, v0, s[6:7] scale_offset
	global_load_b32 v18, v0, s[6:7] offset:1024 scale_offset
	global_load_b32 v19, v0, s[6:7] offset:2048 scale_offset
	global_load_b32 v20, v0, s[6:7] offset:3072 scale_offset
	global_load_b32 v21, v0, s[6:7] offset:4096 scale_offset
	global_load_b32 v22, v0, s[6:7] offset:5120 scale_offset
	global_load_b32 v23, v0, s[6:7] offset:6144 scale_offset
	global_load_b32 v24, v0, s[6:7] offset:7168 scale_offset
	global_load_b64 v[2:3], v0, s[4:5] scale_offset
	global_load_b64 v[4:5], v0, s[4:5] offset:2048 scale_offset
	global_load_b64 v[6:7], v0, s[4:5] offset:4096 scale_offset
	;; [unrolled: 1-line block ×6, first 2 shown]
	; meta instruction
	global_load_b64 v[16:17], v0, s[4:5] offset:14336 scale_offset
	s_wait_xcnt 0x0
	s_movk_i32 s4, 0x64
	s_wait_loadcnt 0xe
	v_dual_lshlrev_b32 v1, 3, v1 :: v_dual_lshlrev_b32 v18, 3, v18
	s_wait_loadcnt 0xc
	v_dual_lshlrev_b32 v19, 3, v19 :: v_dual_lshlrev_b32 v20, 3, v20
	;; [unrolled: 2-line block ×4, first 2 shown]
.LBB167_1:                              ; =>This Inner Loop Header: Depth=1
	s_wait_loadcnt 0x7
	ds_store_b64 v1, v[2:3]
	s_wait_loadcnt 0x6
	ds_store_b64 v18, v[4:5]
	;; [unrolled: 2-line block ×8, first 2 shown]
	s_wait_dscnt 0x0
	s_barrier_signal -1
	s_barrier_wait -1
	ds_load_2addr_stride64_b64 v[2:5], v25 offset1:4
	ds_load_2addr_stride64_b64 v[6:9], v25 offset0:8 offset1:12
	ds_load_2addr_stride64_b64 v[10:13], v25 offset0:16 offset1:20
	;; [unrolled: 1-line block ×3, first 2 shown]
	s_add_co_i32 s4, s4, -1
	s_wait_dscnt 0x0
	s_cmp_lg_u32 s4, 0
	s_barrier_signal -1
	s_barrier_wait -1
	s_cbranch_scc1 .LBB167_1
; %bb.2:
	s_add_nc_u64 s[0:1], s[0:1], s[2:3]
	s_clause 0x7
	global_store_b64 v0, v[2:3], s[0:1] scale_offset
	global_store_b64 v0, v[4:5], s[0:1] offset:2048 scale_offset
	global_store_b64 v0, v[6:7], s[0:1] offset:4096 scale_offset
	;; [unrolled: 1-line block ×7, first 2 shown]
	s_endpgm
	.section	.rodata,"a",@progbits
	.p2align	6, 0x0
	.amdhsa_kernel _Z6kernelI18scatter_to_stripedxLj256ELj8ELj100EEvPKT0_PKjPS1_
		.amdhsa_group_segment_fixed_size 16896
		.amdhsa_private_segment_fixed_size 0
		.amdhsa_kernarg_size 24
		.amdhsa_user_sgpr_count 2
		.amdhsa_user_sgpr_dispatch_ptr 0
		.amdhsa_user_sgpr_queue_ptr 0
		.amdhsa_user_sgpr_kernarg_segment_ptr 1
		.amdhsa_user_sgpr_dispatch_id 0
		.amdhsa_user_sgpr_kernarg_preload_length 0
		.amdhsa_user_sgpr_kernarg_preload_offset 0
		.amdhsa_user_sgpr_private_segment_size 0
		.amdhsa_wavefront_size32 1
		.amdhsa_uses_dynamic_stack 0
		.amdhsa_enable_private_segment 0
		.amdhsa_system_sgpr_workgroup_id_x 1
		.amdhsa_system_sgpr_workgroup_id_y 0
		.amdhsa_system_sgpr_workgroup_id_z 0
		.amdhsa_system_sgpr_workgroup_info 0
		.amdhsa_system_vgpr_workitem_id 0
		.amdhsa_next_free_vgpr 26
		.amdhsa_next_free_sgpr 10
		.amdhsa_named_barrier_count 0
		.amdhsa_reserve_vcc 0
		.amdhsa_float_round_mode_32 0
		.amdhsa_float_round_mode_16_64 0
		.amdhsa_float_denorm_mode_32 3
		.amdhsa_float_denorm_mode_16_64 3
		.amdhsa_fp16_overflow 0
		.amdhsa_memory_ordered 1
		.amdhsa_forward_progress 1
		.amdhsa_inst_pref_size 5
		.amdhsa_round_robin_scheduling 0
		.amdhsa_exception_fp_ieee_invalid_op 0
		.amdhsa_exception_fp_denorm_src 0
		.amdhsa_exception_fp_ieee_div_zero 0
		.amdhsa_exception_fp_ieee_overflow 0
		.amdhsa_exception_fp_ieee_underflow 0
		.amdhsa_exception_fp_ieee_inexact 0
		.amdhsa_exception_int_div_zero 0
	.end_amdhsa_kernel
	.section	.text._Z6kernelI18scatter_to_stripedxLj256ELj8ELj100EEvPKT0_PKjPS1_,"axG",@progbits,_Z6kernelI18scatter_to_stripedxLj256ELj8ELj100EEvPKT0_PKjPS1_,comdat
.Lfunc_end167:
	.size	_Z6kernelI18scatter_to_stripedxLj256ELj8ELj100EEvPKT0_PKjPS1_, .Lfunc_end167-_Z6kernelI18scatter_to_stripedxLj256ELj8ELj100EEvPKT0_PKjPS1_
                                        ; -- End function
	.set _Z6kernelI18scatter_to_stripedxLj256ELj8ELj100EEvPKT0_PKjPS1_.num_vgpr, 26
	.set _Z6kernelI18scatter_to_stripedxLj256ELj8ELj100EEvPKT0_PKjPS1_.num_agpr, 0
	.set _Z6kernelI18scatter_to_stripedxLj256ELj8ELj100EEvPKT0_PKjPS1_.numbered_sgpr, 10
	.set _Z6kernelI18scatter_to_stripedxLj256ELj8ELj100EEvPKT0_PKjPS1_.num_named_barrier, 0
	.set _Z6kernelI18scatter_to_stripedxLj256ELj8ELj100EEvPKT0_PKjPS1_.private_seg_size, 0
	.set _Z6kernelI18scatter_to_stripedxLj256ELj8ELj100EEvPKT0_PKjPS1_.uses_vcc, 0
	.set _Z6kernelI18scatter_to_stripedxLj256ELj8ELj100EEvPKT0_PKjPS1_.uses_flat_scratch, 0
	.set _Z6kernelI18scatter_to_stripedxLj256ELj8ELj100EEvPKT0_PKjPS1_.has_dyn_sized_stack, 0
	.set _Z6kernelI18scatter_to_stripedxLj256ELj8ELj100EEvPKT0_PKjPS1_.has_recursion, 0
	.set _Z6kernelI18scatter_to_stripedxLj256ELj8ELj100EEvPKT0_PKjPS1_.has_indirect_call, 0
	.section	.AMDGPU.csdata,"",@progbits
; Kernel info:
; codeLenInByte = 632
; TotalNumSgprs: 10
; NumVgprs: 26
; ScratchSize: 0
; MemoryBound: 1
; FloatMode: 240
; IeeeMode: 1
; LDSByteSize: 16896 bytes/workgroup (compile time only)
; SGPRBlocks: 0
; VGPRBlocks: 1
; NumSGPRsForWavesPerEU: 10
; NumVGPRsForWavesPerEU: 26
; NamedBarCnt: 0
; Occupancy: 16
; WaveLimiterHint : 1
; COMPUTE_PGM_RSRC2:SCRATCH_EN: 0
; COMPUTE_PGM_RSRC2:USER_SGPR: 2
; COMPUTE_PGM_RSRC2:TRAP_HANDLER: 0
; COMPUTE_PGM_RSRC2:TGID_X_EN: 1
; COMPUTE_PGM_RSRC2:TGID_Y_EN: 0
; COMPUTE_PGM_RSRC2:TGID_Z_EN: 0
; COMPUTE_PGM_RSRC2:TIDIG_COMP_CNT: 0
	.section	.text._Z6kernelI18scatter_to_stripedN15benchmark_utils11custom_typeIffEELj256ELj1ELj100EEvPKT0_PKjPS4_,"axG",@progbits,_Z6kernelI18scatter_to_stripedN15benchmark_utils11custom_typeIffEELj256ELj1ELj100EEvPKT0_PKjPS4_,comdat
	.protected	_Z6kernelI18scatter_to_stripedN15benchmark_utils11custom_typeIffEELj256ELj1ELj100EEvPKT0_PKjPS4_ ; -- Begin function _Z6kernelI18scatter_to_stripedN15benchmark_utils11custom_typeIffEELj256ELj1ELj100EEvPKT0_PKjPS4_
	.globl	_Z6kernelI18scatter_to_stripedN15benchmark_utils11custom_typeIffEELj256ELj1ELj100EEvPKT0_PKjPS4_
	.p2align	8
	.type	_Z6kernelI18scatter_to_stripedN15benchmark_utils11custom_typeIffEELj256ELj1ELj100EEvPKT0_PKjPS4_,@function
_Z6kernelI18scatter_to_stripedN15benchmark_utils11custom_typeIffEELj256ELj1ELj100EEvPKT0_PKjPS4_: ; @_Z6kernelI18scatter_to_stripedN15benchmark_utils11custom_typeIffEELj256ELj1ELj100EEvPKT0_PKjPS4_
; %bb.0:
	s_load_b128 s[4:7], s[0:1], 0x0
	s_bfe_u32 s2, ttmp6, 0x4000c
	s_and_b32 s3, ttmp6, 15
	s_add_co_i32 s2, s2, 1
	s_getreg_b32 s8, hwreg(HW_REG_IB_STS2, 6, 4)
	s_mul_i32 s2, ttmp9, s2
	s_wait_xcnt 0x0
	s_load_b64 s[0:1], s[0:1], 0x10
	s_add_co_i32 s3, s3, s2
	s_cmp_eq_u32 s8, 0
	v_lshlrev_b32_e32 v4, 3, v0
	s_cselect_b32 s2, ttmp9, s3
	s_mov_b32 s3, 0
	s_lshl_b32 s2, s2, 8
	s_delay_alu instid0(SALU_CYCLE_1)
	s_lshl_b64 s[8:9], s[2:3], 2
	s_lshl_b64 s[2:3], s[2:3], 3
	s_wait_kmcnt 0x0
	s_add_nc_u64 s[6:7], s[6:7], s[8:9]
	s_add_nc_u64 s[4:5], s[4:5], s[2:3]
	s_clause 0x1
	global_load_b32 v1, v0, s[6:7] scale_offset
	global_load_b64 v[2:3], v0, s[4:5] scale_offset
	s_wait_xcnt 0x0
	s_movk_i32 s4, 0x64
	s_wait_loadcnt 0x1
	v_lshlrev_b32_e32 v1, 3, v1
.LBB168_1:                              ; =>This Inner Loop Header: Depth=1
	s_wait_loadcnt 0x0
	ds_store_b64 v1, v[2:3]
	s_wait_dscnt 0x0
	s_barrier_signal -1
	s_barrier_wait -1
	ds_load_b64 v[2:3], v4
	s_add_co_i32 s4, s4, -1
	s_wait_dscnt 0x0
	s_cmp_lg_u32 s4, 0
	s_barrier_signal -1
	s_barrier_wait -1
	s_cbranch_scc1 .LBB168_1
; %bb.2:
	s_add_nc_u64 s[0:1], s[0:1], s[2:3]
	global_store_b64 v0, v[2:3], s[0:1] scale_offset
	s_endpgm
	.section	.rodata,"a",@progbits
	.p2align	6, 0x0
	.amdhsa_kernel _Z6kernelI18scatter_to_stripedN15benchmark_utils11custom_typeIffEELj256ELj1ELj100EEvPKT0_PKjPS4_
		.amdhsa_group_segment_fixed_size 2048
		.amdhsa_private_segment_fixed_size 0
		.amdhsa_kernarg_size 24
		.amdhsa_user_sgpr_count 2
		.amdhsa_user_sgpr_dispatch_ptr 0
		.amdhsa_user_sgpr_queue_ptr 0
		.amdhsa_user_sgpr_kernarg_segment_ptr 1
		.amdhsa_user_sgpr_dispatch_id 0
		.amdhsa_user_sgpr_kernarg_preload_length 0
		.amdhsa_user_sgpr_kernarg_preload_offset 0
		.amdhsa_user_sgpr_private_segment_size 0
		.amdhsa_wavefront_size32 1
		.amdhsa_uses_dynamic_stack 0
		.amdhsa_enable_private_segment 0
		.amdhsa_system_sgpr_workgroup_id_x 1
		.amdhsa_system_sgpr_workgroup_id_y 0
		.amdhsa_system_sgpr_workgroup_id_z 0
		.amdhsa_system_sgpr_workgroup_info 0
		.amdhsa_system_vgpr_workitem_id 0
		.amdhsa_next_free_vgpr 5
		.amdhsa_next_free_sgpr 10
		.amdhsa_named_barrier_count 0
		.amdhsa_reserve_vcc 0
		.amdhsa_float_round_mode_32 0
		.amdhsa_float_round_mode_16_64 0
		.amdhsa_float_denorm_mode_32 3
		.amdhsa_float_denorm_mode_16_64 3
		.amdhsa_fp16_overflow 0
		.amdhsa_memory_ordered 1
		.amdhsa_forward_progress 1
		.amdhsa_inst_pref_size 2
		.amdhsa_round_robin_scheduling 0
		.amdhsa_exception_fp_ieee_invalid_op 0
		.amdhsa_exception_fp_denorm_src 0
		.amdhsa_exception_fp_ieee_div_zero 0
		.amdhsa_exception_fp_ieee_overflow 0
		.amdhsa_exception_fp_ieee_underflow 0
		.amdhsa_exception_fp_ieee_inexact 0
		.amdhsa_exception_int_div_zero 0
	.end_amdhsa_kernel
	.section	.text._Z6kernelI18scatter_to_stripedN15benchmark_utils11custom_typeIffEELj256ELj1ELj100EEvPKT0_PKjPS4_,"axG",@progbits,_Z6kernelI18scatter_to_stripedN15benchmark_utils11custom_typeIffEELj256ELj1ELj100EEvPKT0_PKjPS4_,comdat
.Lfunc_end168:
	.size	_Z6kernelI18scatter_to_stripedN15benchmark_utils11custom_typeIffEELj256ELj1ELj100EEvPKT0_PKjPS4_, .Lfunc_end168-_Z6kernelI18scatter_to_stripedN15benchmark_utils11custom_typeIffEELj256ELj1ELj100EEvPKT0_PKjPS4_
                                        ; -- End function
	.set _Z6kernelI18scatter_to_stripedN15benchmark_utils11custom_typeIffEELj256ELj1ELj100EEvPKT0_PKjPS4_.num_vgpr, 5
	.set _Z6kernelI18scatter_to_stripedN15benchmark_utils11custom_typeIffEELj256ELj1ELj100EEvPKT0_PKjPS4_.num_agpr, 0
	.set _Z6kernelI18scatter_to_stripedN15benchmark_utils11custom_typeIffEELj256ELj1ELj100EEvPKT0_PKjPS4_.numbered_sgpr, 10
	.set _Z6kernelI18scatter_to_stripedN15benchmark_utils11custom_typeIffEELj256ELj1ELj100EEvPKT0_PKjPS4_.num_named_barrier, 0
	.set _Z6kernelI18scatter_to_stripedN15benchmark_utils11custom_typeIffEELj256ELj1ELj100EEvPKT0_PKjPS4_.private_seg_size, 0
	.set _Z6kernelI18scatter_to_stripedN15benchmark_utils11custom_typeIffEELj256ELj1ELj100EEvPKT0_PKjPS4_.uses_vcc, 0
	.set _Z6kernelI18scatter_to_stripedN15benchmark_utils11custom_typeIffEELj256ELj1ELj100EEvPKT0_PKjPS4_.uses_flat_scratch, 0
	.set _Z6kernelI18scatter_to_stripedN15benchmark_utils11custom_typeIffEELj256ELj1ELj100EEvPKT0_PKjPS4_.has_dyn_sized_stack, 0
	.set _Z6kernelI18scatter_to_stripedN15benchmark_utils11custom_typeIffEELj256ELj1ELj100EEvPKT0_PKjPS4_.has_recursion, 0
	.set _Z6kernelI18scatter_to_stripedN15benchmark_utils11custom_typeIffEELj256ELj1ELj100EEvPKT0_PKjPS4_.has_indirect_call, 0
	.section	.AMDGPU.csdata,"",@progbits
; Kernel info:
; codeLenInByte = 212
; TotalNumSgprs: 10
; NumVgprs: 5
; ScratchSize: 0
; MemoryBound: 0
; FloatMode: 240
; IeeeMode: 1
; LDSByteSize: 2048 bytes/workgroup (compile time only)
; SGPRBlocks: 0
; VGPRBlocks: 0
; NumSGPRsForWavesPerEU: 10
; NumVGPRsForWavesPerEU: 5
; NamedBarCnt: 0
; Occupancy: 16
; WaveLimiterHint : 0
; COMPUTE_PGM_RSRC2:SCRATCH_EN: 0
; COMPUTE_PGM_RSRC2:USER_SGPR: 2
; COMPUTE_PGM_RSRC2:TRAP_HANDLER: 0
; COMPUTE_PGM_RSRC2:TGID_X_EN: 1
; COMPUTE_PGM_RSRC2:TGID_Y_EN: 0
; COMPUTE_PGM_RSRC2:TGID_Z_EN: 0
; COMPUTE_PGM_RSRC2:TIDIG_COMP_CNT: 0
	.section	.text._Z6kernelI18scatter_to_stripedN15benchmark_utils11custom_typeIffEELj256ELj2ELj100EEvPKT0_PKjPS4_,"axG",@progbits,_Z6kernelI18scatter_to_stripedN15benchmark_utils11custom_typeIffEELj256ELj2ELj100EEvPKT0_PKjPS4_,comdat
	.protected	_Z6kernelI18scatter_to_stripedN15benchmark_utils11custom_typeIffEELj256ELj2ELj100EEvPKT0_PKjPS4_ ; -- Begin function _Z6kernelI18scatter_to_stripedN15benchmark_utils11custom_typeIffEELj256ELj2ELj100EEvPKT0_PKjPS4_
	.globl	_Z6kernelI18scatter_to_stripedN15benchmark_utils11custom_typeIffEELj256ELj2ELj100EEvPKT0_PKjPS4_
	.p2align	8
	.type	_Z6kernelI18scatter_to_stripedN15benchmark_utils11custom_typeIffEELj256ELj2ELj100EEvPKT0_PKjPS4_,@function
_Z6kernelI18scatter_to_stripedN15benchmark_utils11custom_typeIffEELj256ELj2ELj100EEvPKT0_PKjPS4_: ; @_Z6kernelI18scatter_to_stripedN15benchmark_utils11custom_typeIffEELj256ELj2ELj100EEvPKT0_PKjPS4_
; %bb.0:
	s_load_b128 s[4:7], s[0:1], 0x0
	s_bfe_u32 s2, ttmp6, 0x4000c
	s_and_b32 s3, ttmp6, 15
	s_add_co_i32 s2, s2, 1
	s_getreg_b32 s8, hwreg(HW_REG_IB_STS2, 6, 4)
	s_mul_i32 s2, ttmp9, s2
	s_wait_xcnt 0x0
	s_load_b64 s[0:1], s[0:1], 0x10
	s_add_co_i32 s3, s3, s2
	s_cmp_eq_u32 s8, 0
	v_lshlrev_b32_e32 v7, 3, v0
	s_cselect_b32 s2, ttmp9, s3
	s_mov_b32 s3, 0
	s_lshl_b32 s2, s2, 9
	s_delay_alu instid0(SALU_CYCLE_1)
	s_lshl_b64 s[8:9], s[2:3], 2
	s_lshl_b64 s[2:3], s[2:3], 3
	s_wait_kmcnt 0x0
	s_add_nc_u64 s[6:7], s[6:7], s[8:9]
	s_add_nc_u64 s[4:5], s[4:5], s[2:3]
	s_clause 0x3
	global_load_b32 v1, v0, s[6:7] scale_offset
	global_load_b32 v6, v0, s[6:7] offset:1024 scale_offset
	global_load_b64 v[2:3], v0, s[4:5] scale_offset
	global_load_b64 v[4:5], v0, s[4:5] offset:2048 scale_offset
	s_wait_xcnt 0x0
	s_movk_i32 s4, 0x64
	s_wait_loadcnt 0x2
	v_dual_lshlrev_b32 v1, 3, v1 :: v_dual_lshlrev_b32 v6, 3, v6
.LBB169_1:                              ; =>This Inner Loop Header: Depth=1
	s_wait_loadcnt 0x1
	ds_store_b64 v1, v[2:3]
	s_wait_loadcnt 0x0
	ds_store_b64 v6, v[4:5]
	s_wait_dscnt 0x0
	s_barrier_signal -1
	s_barrier_wait -1
	ds_load_2addr_stride64_b64 v[2:5], v7 offset1:4
	s_add_co_i32 s4, s4, -1
	s_wait_dscnt 0x0
	s_cmp_lg_u32 s4, 0
	s_barrier_signal -1
	s_barrier_wait -1
	s_cbranch_scc1 .LBB169_1
; %bb.2:
	s_add_nc_u64 s[0:1], s[0:1], s[2:3]
	s_clause 0x1
	global_store_b64 v0, v[2:3], s[0:1] scale_offset
	global_store_b64 v0, v[4:5], s[0:1] offset:2048 scale_offset
	s_endpgm
	.section	.rodata,"a",@progbits
	.p2align	6, 0x0
	.amdhsa_kernel _Z6kernelI18scatter_to_stripedN15benchmark_utils11custom_typeIffEELj256ELj2ELj100EEvPKT0_PKjPS4_
		.amdhsa_group_segment_fixed_size 4224
		.amdhsa_private_segment_fixed_size 0
		.amdhsa_kernarg_size 24
		.amdhsa_user_sgpr_count 2
		.amdhsa_user_sgpr_dispatch_ptr 0
		.amdhsa_user_sgpr_queue_ptr 0
		.amdhsa_user_sgpr_kernarg_segment_ptr 1
		.amdhsa_user_sgpr_dispatch_id 0
		.amdhsa_user_sgpr_kernarg_preload_length 0
		.amdhsa_user_sgpr_kernarg_preload_offset 0
		.amdhsa_user_sgpr_private_segment_size 0
		.amdhsa_wavefront_size32 1
		.amdhsa_uses_dynamic_stack 0
		.amdhsa_enable_private_segment 0
		.amdhsa_system_sgpr_workgroup_id_x 1
		.amdhsa_system_sgpr_workgroup_id_y 0
		.amdhsa_system_sgpr_workgroup_id_z 0
		.amdhsa_system_sgpr_workgroup_info 0
		.amdhsa_system_vgpr_workitem_id 0
		.amdhsa_next_free_vgpr 8
		.amdhsa_next_free_sgpr 10
		.amdhsa_named_barrier_count 0
		.amdhsa_reserve_vcc 0
		.amdhsa_float_round_mode_32 0
		.amdhsa_float_round_mode_16_64 0
		.amdhsa_float_denorm_mode_32 3
		.amdhsa_float_denorm_mode_16_64 3
		.amdhsa_fp16_overflow 0
		.amdhsa_memory_ordered 1
		.amdhsa_forward_progress 1
		.amdhsa_inst_pref_size 3
		.amdhsa_round_robin_scheduling 0
		.amdhsa_exception_fp_ieee_invalid_op 0
		.amdhsa_exception_fp_denorm_src 0
		.amdhsa_exception_fp_ieee_div_zero 0
		.amdhsa_exception_fp_ieee_overflow 0
		.amdhsa_exception_fp_ieee_underflow 0
		.amdhsa_exception_fp_ieee_inexact 0
		.amdhsa_exception_int_div_zero 0
	.end_amdhsa_kernel
	.section	.text._Z6kernelI18scatter_to_stripedN15benchmark_utils11custom_typeIffEELj256ELj2ELj100EEvPKT0_PKjPS4_,"axG",@progbits,_Z6kernelI18scatter_to_stripedN15benchmark_utils11custom_typeIffEELj256ELj2ELj100EEvPKT0_PKjPS4_,comdat
.Lfunc_end169:
	.size	_Z6kernelI18scatter_to_stripedN15benchmark_utils11custom_typeIffEELj256ELj2ELj100EEvPKT0_PKjPS4_, .Lfunc_end169-_Z6kernelI18scatter_to_stripedN15benchmark_utils11custom_typeIffEELj256ELj2ELj100EEvPKT0_PKjPS4_
                                        ; -- End function
	.set _Z6kernelI18scatter_to_stripedN15benchmark_utils11custom_typeIffEELj256ELj2ELj100EEvPKT0_PKjPS4_.num_vgpr, 8
	.set _Z6kernelI18scatter_to_stripedN15benchmark_utils11custom_typeIffEELj256ELj2ELj100EEvPKT0_PKjPS4_.num_agpr, 0
	.set _Z6kernelI18scatter_to_stripedN15benchmark_utils11custom_typeIffEELj256ELj2ELj100EEvPKT0_PKjPS4_.numbered_sgpr, 10
	.set _Z6kernelI18scatter_to_stripedN15benchmark_utils11custom_typeIffEELj256ELj2ELj100EEvPKT0_PKjPS4_.num_named_barrier, 0
	.set _Z6kernelI18scatter_to_stripedN15benchmark_utils11custom_typeIffEELj256ELj2ELj100EEvPKT0_PKjPS4_.private_seg_size, 0
	.set _Z6kernelI18scatter_to_stripedN15benchmark_utils11custom_typeIffEELj256ELj2ELj100EEvPKT0_PKjPS4_.uses_vcc, 0
	.set _Z6kernelI18scatter_to_stripedN15benchmark_utils11custom_typeIffEELj256ELj2ELj100EEvPKT0_PKjPS4_.uses_flat_scratch, 0
	.set _Z6kernelI18scatter_to_stripedN15benchmark_utils11custom_typeIffEELj256ELj2ELj100EEvPKT0_PKjPS4_.has_dyn_sized_stack, 0
	.set _Z6kernelI18scatter_to_stripedN15benchmark_utils11custom_typeIffEELj256ELj2ELj100EEvPKT0_PKjPS4_.has_recursion, 0
	.set _Z6kernelI18scatter_to_stripedN15benchmark_utils11custom_typeIffEELj256ELj2ELj100EEvPKT0_PKjPS4_.has_indirect_call, 0
	.section	.AMDGPU.csdata,"",@progbits
; Kernel info:
; codeLenInByte = 272
; TotalNumSgprs: 10
; NumVgprs: 8
; ScratchSize: 0
; MemoryBound: 0
; FloatMode: 240
; IeeeMode: 1
; LDSByteSize: 4224 bytes/workgroup (compile time only)
; SGPRBlocks: 0
; VGPRBlocks: 0
; NumSGPRsForWavesPerEU: 10
; NumVGPRsForWavesPerEU: 8
; NamedBarCnt: 0
; Occupancy: 16
; WaveLimiterHint : 1
; COMPUTE_PGM_RSRC2:SCRATCH_EN: 0
; COMPUTE_PGM_RSRC2:USER_SGPR: 2
; COMPUTE_PGM_RSRC2:TRAP_HANDLER: 0
; COMPUTE_PGM_RSRC2:TGID_X_EN: 1
; COMPUTE_PGM_RSRC2:TGID_Y_EN: 0
; COMPUTE_PGM_RSRC2:TGID_Z_EN: 0
; COMPUTE_PGM_RSRC2:TIDIG_COMP_CNT: 0
	.section	.text._Z6kernelI18scatter_to_stripedN15benchmark_utils11custom_typeIffEELj256ELj3ELj100EEvPKT0_PKjPS4_,"axG",@progbits,_Z6kernelI18scatter_to_stripedN15benchmark_utils11custom_typeIffEELj256ELj3ELj100EEvPKT0_PKjPS4_,comdat
	.protected	_Z6kernelI18scatter_to_stripedN15benchmark_utils11custom_typeIffEELj256ELj3ELj100EEvPKT0_PKjPS4_ ; -- Begin function _Z6kernelI18scatter_to_stripedN15benchmark_utils11custom_typeIffEELj256ELj3ELj100EEvPKT0_PKjPS4_
	.globl	_Z6kernelI18scatter_to_stripedN15benchmark_utils11custom_typeIffEELj256ELj3ELj100EEvPKT0_PKjPS4_
	.p2align	8
	.type	_Z6kernelI18scatter_to_stripedN15benchmark_utils11custom_typeIffEELj256ELj3ELj100EEvPKT0_PKjPS4_,@function
_Z6kernelI18scatter_to_stripedN15benchmark_utils11custom_typeIffEELj256ELj3ELj100EEvPKT0_PKjPS4_: ; @_Z6kernelI18scatter_to_stripedN15benchmark_utils11custom_typeIffEELj256ELj3ELj100EEvPKT0_PKjPS4_
; %bb.0:
	s_load_b128 s[4:7], s[0:1], 0x0
	s_bfe_u32 s2, ttmp6, 0x4000c
	s_and_b32 s3, ttmp6, 15
	s_add_co_i32 s2, s2, 1
	s_getreg_b32 s8, hwreg(HW_REG_IB_STS2, 6, 4)
	s_mul_i32 s2, ttmp9, s2
	s_wait_xcnt 0x0
	s_load_b64 s[0:1], s[0:1], 0x10
	s_add_co_i32 s3, s3, s2
	s_cmp_eq_u32 s8, 0
	v_lshlrev_b32_e32 v10, 3, v0
	s_cselect_b32 s2, ttmp9, s3
	s_mov_b32 s3, 0
	s_mulk_i32 s2, 0x300
	s_delay_alu instid0(SALU_CYCLE_1)
	s_lshl_b64 s[8:9], s[2:3], 2
	s_lshl_b64 s[2:3], s[2:3], 3
	s_wait_kmcnt 0x0
	s_add_nc_u64 s[6:7], s[6:7], s[8:9]
	s_clause 0x2
	global_load_b32 v1, v0, s[6:7] scale_offset
	global_load_b32 v8, v0, s[6:7] offset:1024 scale_offset
	global_load_b32 v9, v0, s[6:7] offset:2048 scale_offset
	s_add_nc_u64 s[4:5], s[4:5], s[2:3]
	s_clause 0x2
	global_load_b64 v[2:3], v0, s[4:5] scale_offset
	global_load_b64 v[4:5], v0, s[4:5] offset:2048 scale_offset
	global_load_b64 v[6:7], v0, s[4:5] offset:4096 scale_offset
	s_wait_xcnt 0x0
	s_movk_i32 s4, 0x64
	s_wait_loadcnt 0x4
	v_dual_lshlrev_b32 v1, 3, v1 :: v_dual_lshlrev_b32 v8, 3, v8
	s_wait_loadcnt 0x3
	v_lshlrev_b32_e32 v9, 3, v9
.LBB170_1:                              ; =>This Inner Loop Header: Depth=1
	s_wait_loadcnt 0x2
	ds_store_b64 v1, v[2:3]
	s_wait_loadcnt 0x1
	ds_store_b64 v8, v[4:5]
	s_wait_loadcnt 0x0
	ds_store_b64 v9, v[6:7]
	s_wait_dscnt 0x0
	s_barrier_signal -1
	s_barrier_wait -1
	ds_load_2addr_stride64_b64 v[2:5], v10 offset1:4
	ds_load_b64 v[6:7], v10 offset:4096
	s_add_co_i32 s4, s4, -1
	s_wait_dscnt 0x0
	s_cmp_lg_u32 s4, 0
	s_barrier_signal -1
	s_barrier_wait -1
	s_cbranch_scc1 .LBB170_1
; %bb.2:
	s_add_nc_u64 s[0:1], s[0:1], s[2:3]
	s_clause 0x2
	global_store_b64 v0, v[2:3], s[0:1] scale_offset
	global_store_b64 v0, v[4:5], s[0:1] offset:2048 scale_offset
	global_store_b64 v0, v[6:7], s[0:1] offset:4096 scale_offset
	s_endpgm
	.section	.rodata,"a",@progbits
	.p2align	6, 0x0
	.amdhsa_kernel _Z6kernelI18scatter_to_stripedN15benchmark_utils11custom_typeIffEELj256ELj3ELj100EEvPKT0_PKjPS4_
		.amdhsa_group_segment_fixed_size 6144
		.amdhsa_private_segment_fixed_size 0
		.amdhsa_kernarg_size 24
		.amdhsa_user_sgpr_count 2
		.amdhsa_user_sgpr_dispatch_ptr 0
		.amdhsa_user_sgpr_queue_ptr 0
		.amdhsa_user_sgpr_kernarg_segment_ptr 1
		.amdhsa_user_sgpr_dispatch_id 0
		.amdhsa_user_sgpr_kernarg_preload_length 0
		.amdhsa_user_sgpr_kernarg_preload_offset 0
		.amdhsa_user_sgpr_private_segment_size 0
		.amdhsa_wavefront_size32 1
		.amdhsa_uses_dynamic_stack 0
		.amdhsa_enable_private_segment 0
		.amdhsa_system_sgpr_workgroup_id_x 1
		.amdhsa_system_sgpr_workgroup_id_y 0
		.amdhsa_system_sgpr_workgroup_id_z 0
		.amdhsa_system_sgpr_workgroup_info 0
		.amdhsa_system_vgpr_workitem_id 0
		.amdhsa_next_free_vgpr 11
		.amdhsa_next_free_sgpr 10
		.amdhsa_named_barrier_count 0
		.amdhsa_reserve_vcc 0
		.amdhsa_float_round_mode_32 0
		.amdhsa_float_round_mode_16_64 0
		.amdhsa_float_denorm_mode_32 3
		.amdhsa_float_denorm_mode_16_64 3
		.amdhsa_fp16_overflow 0
		.amdhsa_memory_ordered 1
		.amdhsa_forward_progress 1
		.amdhsa_inst_pref_size 3
		.amdhsa_round_robin_scheduling 0
		.amdhsa_exception_fp_ieee_invalid_op 0
		.amdhsa_exception_fp_denorm_src 0
		.amdhsa_exception_fp_ieee_div_zero 0
		.amdhsa_exception_fp_ieee_overflow 0
		.amdhsa_exception_fp_ieee_underflow 0
		.amdhsa_exception_fp_ieee_inexact 0
		.amdhsa_exception_int_div_zero 0
	.end_amdhsa_kernel
	.section	.text._Z6kernelI18scatter_to_stripedN15benchmark_utils11custom_typeIffEELj256ELj3ELj100EEvPKT0_PKjPS4_,"axG",@progbits,_Z6kernelI18scatter_to_stripedN15benchmark_utils11custom_typeIffEELj256ELj3ELj100EEvPKT0_PKjPS4_,comdat
.Lfunc_end170:
	.size	_Z6kernelI18scatter_to_stripedN15benchmark_utils11custom_typeIffEELj256ELj3ELj100EEvPKT0_PKjPS4_, .Lfunc_end170-_Z6kernelI18scatter_to_stripedN15benchmark_utils11custom_typeIffEELj256ELj3ELj100EEvPKT0_PKjPS4_
                                        ; -- End function
	.set _Z6kernelI18scatter_to_stripedN15benchmark_utils11custom_typeIffEELj256ELj3ELj100EEvPKT0_PKjPS4_.num_vgpr, 11
	.set _Z6kernelI18scatter_to_stripedN15benchmark_utils11custom_typeIffEELj256ELj3ELj100EEvPKT0_PKjPS4_.num_agpr, 0
	.set _Z6kernelI18scatter_to_stripedN15benchmark_utils11custom_typeIffEELj256ELj3ELj100EEvPKT0_PKjPS4_.numbered_sgpr, 10
	.set _Z6kernelI18scatter_to_stripedN15benchmark_utils11custom_typeIffEELj256ELj3ELj100EEvPKT0_PKjPS4_.num_named_barrier, 0
	.set _Z6kernelI18scatter_to_stripedN15benchmark_utils11custom_typeIffEELj256ELj3ELj100EEvPKT0_PKjPS4_.private_seg_size, 0
	.set _Z6kernelI18scatter_to_stripedN15benchmark_utils11custom_typeIffEELj256ELj3ELj100EEvPKT0_PKjPS4_.uses_vcc, 0
	.set _Z6kernelI18scatter_to_stripedN15benchmark_utils11custom_typeIffEELj256ELj3ELj100EEvPKT0_PKjPS4_.uses_flat_scratch, 0
	.set _Z6kernelI18scatter_to_stripedN15benchmark_utils11custom_typeIffEELj256ELj3ELj100EEvPKT0_PKjPS4_.has_dyn_sized_stack, 0
	.set _Z6kernelI18scatter_to_stripedN15benchmark_utils11custom_typeIffEELj256ELj3ELj100EEvPKT0_PKjPS4_.has_recursion, 0
	.set _Z6kernelI18scatter_to_stripedN15benchmark_utils11custom_typeIffEELj256ELj3ELj100EEvPKT0_PKjPS4_.has_indirect_call, 0
	.section	.AMDGPU.csdata,"",@progbits
; Kernel info:
; codeLenInByte = 340
; TotalNumSgprs: 10
; NumVgprs: 11
; ScratchSize: 0
; MemoryBound: 0
; FloatMode: 240
; IeeeMode: 1
; LDSByteSize: 6144 bytes/workgroup (compile time only)
; SGPRBlocks: 0
; VGPRBlocks: 0
; NumSGPRsForWavesPerEU: 10
; NumVGPRsForWavesPerEU: 11
; NamedBarCnt: 0
; Occupancy: 16
; WaveLimiterHint : 1
; COMPUTE_PGM_RSRC2:SCRATCH_EN: 0
; COMPUTE_PGM_RSRC2:USER_SGPR: 2
; COMPUTE_PGM_RSRC2:TRAP_HANDLER: 0
; COMPUTE_PGM_RSRC2:TGID_X_EN: 1
; COMPUTE_PGM_RSRC2:TGID_Y_EN: 0
; COMPUTE_PGM_RSRC2:TGID_Z_EN: 0
; COMPUTE_PGM_RSRC2:TIDIG_COMP_CNT: 0
	.section	.text._Z6kernelI18scatter_to_stripedN15benchmark_utils11custom_typeIffEELj256ELj4ELj100EEvPKT0_PKjPS4_,"axG",@progbits,_Z6kernelI18scatter_to_stripedN15benchmark_utils11custom_typeIffEELj256ELj4ELj100EEvPKT0_PKjPS4_,comdat
	.protected	_Z6kernelI18scatter_to_stripedN15benchmark_utils11custom_typeIffEELj256ELj4ELj100EEvPKT0_PKjPS4_ ; -- Begin function _Z6kernelI18scatter_to_stripedN15benchmark_utils11custom_typeIffEELj256ELj4ELj100EEvPKT0_PKjPS4_
	.globl	_Z6kernelI18scatter_to_stripedN15benchmark_utils11custom_typeIffEELj256ELj4ELj100EEvPKT0_PKjPS4_
	.p2align	8
	.type	_Z6kernelI18scatter_to_stripedN15benchmark_utils11custom_typeIffEELj256ELj4ELj100EEvPKT0_PKjPS4_,@function
_Z6kernelI18scatter_to_stripedN15benchmark_utils11custom_typeIffEELj256ELj4ELj100EEvPKT0_PKjPS4_: ; @_Z6kernelI18scatter_to_stripedN15benchmark_utils11custom_typeIffEELj256ELj4ELj100EEvPKT0_PKjPS4_
; %bb.0:
	s_load_b128 s[4:7], s[0:1], 0x0
	s_bfe_u32 s2, ttmp6, 0x4000c
	s_and_b32 s3, ttmp6, 15
	s_add_co_i32 s2, s2, 1
	s_getreg_b32 s8, hwreg(HW_REG_IB_STS2, 6, 4)
	s_mul_i32 s2, ttmp9, s2
	s_wait_xcnt 0x0
	s_load_b64 s[0:1], s[0:1], 0x10
	s_add_co_i32 s3, s3, s2
	s_cmp_eq_u32 s8, 0
	v_lshlrev_b32_e32 v13, 3, v0
	s_cselect_b32 s2, ttmp9, s3
	s_mov_b32 s3, 0
	s_lshl_b32 s2, s2, 10
	s_delay_alu instid0(SALU_CYCLE_1)
	s_lshl_b64 s[8:9], s[2:3], 2
	s_lshl_b64 s[2:3], s[2:3], 3
	s_wait_kmcnt 0x0
	s_add_nc_u64 s[6:7], s[6:7], s[8:9]
	s_add_nc_u64 s[4:5], s[4:5], s[2:3]
	s_clause 0x7
	global_load_b32 v1, v0, s[6:7] scale_offset
	global_load_b32 v10, v0, s[6:7] offset:1024 scale_offset
	global_load_b32 v11, v0, s[6:7] offset:2048 scale_offset
	;; [unrolled: 1-line block ×3, first 2 shown]
	global_load_b64 v[2:3], v0, s[4:5] scale_offset
	global_load_b64 v[4:5], v0, s[4:5] offset:2048 scale_offset
	global_load_b64 v[6:7], v0, s[4:5] offset:4096 scale_offset
	;; [unrolled: 1-line block ×3, first 2 shown]
	s_wait_xcnt 0x0
	s_movk_i32 s4, 0x64
	s_wait_loadcnt 0x6
	v_dual_lshlrev_b32 v1, 3, v1 :: v_dual_lshlrev_b32 v10, 3, v10
	s_wait_loadcnt 0x4
	v_dual_lshlrev_b32 v11, 3, v11 :: v_dual_lshlrev_b32 v12, 3, v12
.LBB171_1:                              ; =>This Inner Loop Header: Depth=1
	s_wait_loadcnt 0x3
	ds_store_b64 v1, v[2:3]
	s_wait_loadcnt 0x2
	ds_store_b64 v10, v[4:5]
	;; [unrolled: 2-line block ×4, first 2 shown]
	s_wait_dscnt 0x0
	s_barrier_signal -1
	s_barrier_wait -1
	ds_load_2addr_stride64_b64 v[2:5], v13 offset1:4
	ds_load_2addr_stride64_b64 v[6:9], v13 offset0:8 offset1:12
	s_add_co_i32 s4, s4, -1
	s_wait_dscnt 0x0
	s_cmp_lg_u32 s4, 0
	s_barrier_signal -1
	s_barrier_wait -1
	s_cbranch_scc1 .LBB171_1
; %bb.2:
	s_add_nc_u64 s[0:1], s[0:1], s[2:3]
	s_clause 0x3
	global_store_b64 v0, v[2:3], s[0:1] scale_offset
	global_store_b64 v0, v[4:5], s[0:1] offset:2048 scale_offset
	global_store_b64 v0, v[6:7], s[0:1] offset:4096 scale_offset
	;; [unrolled: 1-line block ×3, first 2 shown]
	s_endpgm
	.section	.rodata,"a",@progbits
	.p2align	6, 0x0
	.amdhsa_kernel _Z6kernelI18scatter_to_stripedN15benchmark_utils11custom_typeIffEELj256ELj4ELj100EEvPKT0_PKjPS4_
		.amdhsa_group_segment_fixed_size 8448
		.amdhsa_private_segment_fixed_size 0
		.amdhsa_kernarg_size 24
		.amdhsa_user_sgpr_count 2
		.amdhsa_user_sgpr_dispatch_ptr 0
		.amdhsa_user_sgpr_queue_ptr 0
		.amdhsa_user_sgpr_kernarg_segment_ptr 1
		.amdhsa_user_sgpr_dispatch_id 0
		.amdhsa_user_sgpr_kernarg_preload_length 0
		.amdhsa_user_sgpr_kernarg_preload_offset 0
		.amdhsa_user_sgpr_private_segment_size 0
		.amdhsa_wavefront_size32 1
		.amdhsa_uses_dynamic_stack 0
		.amdhsa_enable_private_segment 0
		.amdhsa_system_sgpr_workgroup_id_x 1
		.amdhsa_system_sgpr_workgroup_id_y 0
		.amdhsa_system_sgpr_workgroup_id_z 0
		.amdhsa_system_sgpr_workgroup_info 0
		.amdhsa_system_vgpr_workitem_id 0
		.amdhsa_next_free_vgpr 14
		.amdhsa_next_free_sgpr 10
		.amdhsa_named_barrier_count 0
		.amdhsa_reserve_vcc 0
		.amdhsa_float_round_mode_32 0
		.amdhsa_float_round_mode_16_64 0
		.amdhsa_float_denorm_mode_32 3
		.amdhsa_float_denorm_mode_16_64 3
		.amdhsa_fp16_overflow 0
		.amdhsa_memory_ordered 1
		.amdhsa_forward_progress 1
		.amdhsa_inst_pref_size 4
		.amdhsa_round_robin_scheduling 0
		.amdhsa_exception_fp_ieee_invalid_op 0
		.amdhsa_exception_fp_denorm_src 0
		.amdhsa_exception_fp_ieee_div_zero 0
		.amdhsa_exception_fp_ieee_overflow 0
		.amdhsa_exception_fp_ieee_underflow 0
		.amdhsa_exception_fp_ieee_inexact 0
		.amdhsa_exception_int_div_zero 0
	.end_amdhsa_kernel
	.section	.text._Z6kernelI18scatter_to_stripedN15benchmark_utils11custom_typeIffEELj256ELj4ELj100EEvPKT0_PKjPS4_,"axG",@progbits,_Z6kernelI18scatter_to_stripedN15benchmark_utils11custom_typeIffEELj256ELj4ELj100EEvPKT0_PKjPS4_,comdat
.Lfunc_end171:
	.size	_Z6kernelI18scatter_to_stripedN15benchmark_utils11custom_typeIffEELj256ELj4ELj100EEvPKT0_PKjPS4_, .Lfunc_end171-_Z6kernelI18scatter_to_stripedN15benchmark_utils11custom_typeIffEELj256ELj4ELj100EEvPKT0_PKjPS4_
                                        ; -- End function
	.set _Z6kernelI18scatter_to_stripedN15benchmark_utils11custom_typeIffEELj256ELj4ELj100EEvPKT0_PKjPS4_.num_vgpr, 14
	.set _Z6kernelI18scatter_to_stripedN15benchmark_utils11custom_typeIffEELj256ELj4ELj100EEvPKT0_PKjPS4_.num_agpr, 0
	.set _Z6kernelI18scatter_to_stripedN15benchmark_utils11custom_typeIffEELj256ELj4ELj100EEvPKT0_PKjPS4_.numbered_sgpr, 10
	.set _Z6kernelI18scatter_to_stripedN15benchmark_utils11custom_typeIffEELj256ELj4ELj100EEvPKT0_PKjPS4_.num_named_barrier, 0
	.set _Z6kernelI18scatter_to_stripedN15benchmark_utils11custom_typeIffEELj256ELj4ELj100EEvPKT0_PKjPS4_.private_seg_size, 0
	.set _Z6kernelI18scatter_to_stripedN15benchmark_utils11custom_typeIffEELj256ELj4ELj100EEvPKT0_PKjPS4_.uses_vcc, 0
	.set _Z6kernelI18scatter_to_stripedN15benchmark_utils11custom_typeIffEELj256ELj4ELj100EEvPKT0_PKjPS4_.uses_flat_scratch, 0
	.set _Z6kernelI18scatter_to_stripedN15benchmark_utils11custom_typeIffEELj256ELj4ELj100EEvPKT0_PKjPS4_.has_dyn_sized_stack, 0
	.set _Z6kernelI18scatter_to_stripedN15benchmark_utils11custom_typeIffEELj256ELj4ELj100EEvPKT0_PKjPS4_.has_recursion, 0
	.set _Z6kernelI18scatter_to_stripedN15benchmark_utils11custom_typeIffEELj256ELj4ELj100EEvPKT0_PKjPS4_.has_indirect_call, 0
	.section	.AMDGPU.csdata,"",@progbits
; Kernel info:
; codeLenInByte = 392
; TotalNumSgprs: 10
; NumVgprs: 14
; ScratchSize: 0
; MemoryBound: 1
; FloatMode: 240
; IeeeMode: 1
; LDSByteSize: 8448 bytes/workgroup (compile time only)
; SGPRBlocks: 0
; VGPRBlocks: 0
; NumSGPRsForWavesPerEU: 10
; NumVGPRsForWavesPerEU: 14
; NamedBarCnt: 0
; Occupancy: 16
; WaveLimiterHint : 1
; COMPUTE_PGM_RSRC2:SCRATCH_EN: 0
; COMPUTE_PGM_RSRC2:USER_SGPR: 2
; COMPUTE_PGM_RSRC2:TRAP_HANDLER: 0
; COMPUTE_PGM_RSRC2:TGID_X_EN: 1
; COMPUTE_PGM_RSRC2:TGID_Y_EN: 0
; COMPUTE_PGM_RSRC2:TGID_Z_EN: 0
; COMPUTE_PGM_RSRC2:TIDIG_COMP_CNT: 0
	.section	.text._Z6kernelI18scatter_to_stripedN15benchmark_utils11custom_typeIffEELj256ELj7ELj100EEvPKT0_PKjPS4_,"axG",@progbits,_Z6kernelI18scatter_to_stripedN15benchmark_utils11custom_typeIffEELj256ELj7ELj100EEvPKT0_PKjPS4_,comdat
	.protected	_Z6kernelI18scatter_to_stripedN15benchmark_utils11custom_typeIffEELj256ELj7ELj100EEvPKT0_PKjPS4_ ; -- Begin function _Z6kernelI18scatter_to_stripedN15benchmark_utils11custom_typeIffEELj256ELj7ELj100EEvPKT0_PKjPS4_
	.globl	_Z6kernelI18scatter_to_stripedN15benchmark_utils11custom_typeIffEELj256ELj7ELj100EEvPKT0_PKjPS4_
	.p2align	8
	.type	_Z6kernelI18scatter_to_stripedN15benchmark_utils11custom_typeIffEELj256ELj7ELj100EEvPKT0_PKjPS4_,@function
_Z6kernelI18scatter_to_stripedN15benchmark_utils11custom_typeIffEELj256ELj7ELj100EEvPKT0_PKjPS4_: ; @_Z6kernelI18scatter_to_stripedN15benchmark_utils11custom_typeIffEELj256ELj7ELj100EEvPKT0_PKjPS4_
; %bb.0:
	s_load_b128 s[4:7], s[0:1], 0x0
	s_bfe_u32 s2, ttmp6, 0x4000c
	s_and_b32 s3, ttmp6, 15
	s_add_co_i32 s2, s2, 1
	s_getreg_b32 s8, hwreg(HW_REG_IB_STS2, 6, 4)
	s_mul_i32 s2, ttmp9, s2
	s_wait_xcnt 0x0
	s_load_b64 s[0:1], s[0:1], 0x10
	s_add_co_i32 s3, s3, s2
	s_cmp_eq_u32 s8, 0
	v_lshlrev_b32_e32 v22, 3, v0
	s_cselect_b32 s2, ttmp9, s3
	s_mov_b32 s3, 0
	s_mulk_i32 s2, 0x700
	s_delay_alu instid0(SALU_CYCLE_1)
	s_lshl_b64 s[8:9], s[2:3], 2
	s_lshl_b64 s[2:3], s[2:3], 3
	s_wait_kmcnt 0x0
	s_add_nc_u64 s[6:7], s[6:7], s[8:9]
	s_add_nc_u64 s[4:5], s[4:5], s[2:3]
	s_clause 0xd
	global_load_b32 v1, v0, s[6:7] scale_offset
	global_load_b32 v16, v0, s[6:7] offset:1024 scale_offset
	global_load_b32 v17, v0, s[6:7] offset:2048 scale_offset
	;; [unrolled: 1-line block ×6, first 2 shown]
	global_load_b64 v[2:3], v0, s[4:5] offset:8192 scale_offset
	global_load_b64 v[4:5], v0, s[4:5] offset:10240 scale_offset
	;; [unrolled: 1-line block ×3, first 2 shown]
	global_load_b64 v[6:7], v0, s[4:5] scale_offset
	global_load_b64 v[8:9], v0, s[4:5] offset:2048 scale_offset
	global_load_b64 v[10:11], v0, s[4:5] offset:4096 scale_offset
	;; [unrolled: 1-line block ×3, first 2 shown]
	s_wait_xcnt 0x0
	s_movk_i32 s4, 0x64
	s_wait_loadcnt 0xc
	v_dual_lshlrev_b32 v1, 3, v1 :: v_dual_lshlrev_b32 v16, 3, v16
	s_wait_loadcnt 0xa
	v_dual_lshlrev_b32 v17, 3, v17 :: v_dual_lshlrev_b32 v18, 3, v18
	;; [unrolled: 2-line block ×3, first 2 shown]
	s_wait_loadcnt 0x7
	v_lshlrev_b32_e32 v21, 3, v21
.LBB172_1:                              ; =>This Inner Loop Header: Depth=1
	s_wait_loadcnt 0x3
	ds_store_b64 v1, v[6:7]
	s_wait_loadcnt 0x2
	ds_store_b64 v16, v[8:9]
	;; [unrolled: 2-line block ×4, first 2 shown]
	ds_store_b64 v19, v[2:3]
	ds_store_b64 v20, v[4:5]
	ds_store_b64 v21, v[14:15]
	s_wait_dscnt 0x0
	s_barrier_signal -1
	s_barrier_wait -1
	ds_load_2addr_stride64_b64 v[6:9], v22 offset1:4
	ds_load_2addr_stride64_b64 v[10:13], v22 offset0:8 offset1:12
	ds_load_2addr_stride64_b64 v[2:5], v22 offset0:16 offset1:20
	ds_load_b64 v[14:15], v22 offset:12288
	s_add_co_i32 s4, s4, -1
	s_wait_dscnt 0x0
	s_cmp_lg_u32 s4, 0
	s_barrier_signal -1
	s_barrier_wait -1
	s_cbranch_scc1 .LBB172_1
; %bb.2:
	s_add_nc_u64 s[0:1], s[0:1], s[2:3]
	s_clause 0x6
	global_store_b64 v0, v[6:7], s[0:1] scale_offset
	global_store_b64 v0, v[8:9], s[0:1] offset:2048 scale_offset
	global_store_b64 v0, v[10:11], s[0:1] offset:4096 scale_offset
	;; [unrolled: 1-line block ×6, first 2 shown]
	s_endpgm
	.section	.rodata,"a",@progbits
	.p2align	6, 0x0
	.amdhsa_kernel _Z6kernelI18scatter_to_stripedN15benchmark_utils11custom_typeIffEELj256ELj7ELj100EEvPKT0_PKjPS4_
		.amdhsa_group_segment_fixed_size 14336
		.amdhsa_private_segment_fixed_size 0
		.amdhsa_kernarg_size 24
		.amdhsa_user_sgpr_count 2
		.amdhsa_user_sgpr_dispatch_ptr 0
		.amdhsa_user_sgpr_queue_ptr 0
		.amdhsa_user_sgpr_kernarg_segment_ptr 1
		.amdhsa_user_sgpr_dispatch_id 0
		.amdhsa_user_sgpr_kernarg_preload_length 0
		.amdhsa_user_sgpr_kernarg_preload_offset 0
		.amdhsa_user_sgpr_private_segment_size 0
		.amdhsa_wavefront_size32 1
		.amdhsa_uses_dynamic_stack 0
		.amdhsa_enable_private_segment 0
		.amdhsa_system_sgpr_workgroup_id_x 1
		.amdhsa_system_sgpr_workgroup_id_y 0
		.amdhsa_system_sgpr_workgroup_id_z 0
		.amdhsa_system_sgpr_workgroup_info 0
		.amdhsa_system_vgpr_workitem_id 0
		.amdhsa_next_free_vgpr 23
		.amdhsa_next_free_sgpr 10
		.amdhsa_named_barrier_count 0
		.amdhsa_reserve_vcc 0
		.amdhsa_float_round_mode_32 0
		.amdhsa_float_round_mode_16_64 0
		.amdhsa_float_denorm_mode_32 3
		.amdhsa_float_denorm_mode_16_64 3
		.amdhsa_fp16_overflow 0
		.amdhsa_memory_ordered 1
		.amdhsa_forward_progress 1
		.amdhsa_inst_pref_size 5
		.amdhsa_round_robin_scheduling 0
		.amdhsa_exception_fp_ieee_invalid_op 0
		.amdhsa_exception_fp_denorm_src 0
		.amdhsa_exception_fp_ieee_div_zero 0
		.amdhsa_exception_fp_ieee_overflow 0
		.amdhsa_exception_fp_ieee_underflow 0
		.amdhsa_exception_fp_ieee_inexact 0
		.amdhsa_exception_int_div_zero 0
	.end_amdhsa_kernel
	.section	.text._Z6kernelI18scatter_to_stripedN15benchmark_utils11custom_typeIffEELj256ELj7ELj100EEvPKT0_PKjPS4_,"axG",@progbits,_Z6kernelI18scatter_to_stripedN15benchmark_utils11custom_typeIffEELj256ELj7ELj100EEvPKT0_PKjPS4_,comdat
.Lfunc_end172:
	.size	_Z6kernelI18scatter_to_stripedN15benchmark_utils11custom_typeIffEELj256ELj7ELj100EEvPKT0_PKjPS4_, .Lfunc_end172-_Z6kernelI18scatter_to_stripedN15benchmark_utils11custom_typeIffEELj256ELj7ELj100EEvPKT0_PKjPS4_
                                        ; -- End function
	.set _Z6kernelI18scatter_to_stripedN15benchmark_utils11custom_typeIffEELj256ELj7ELj100EEvPKT0_PKjPS4_.num_vgpr, 23
	.set _Z6kernelI18scatter_to_stripedN15benchmark_utils11custom_typeIffEELj256ELj7ELj100EEvPKT0_PKjPS4_.num_agpr, 0
	.set _Z6kernelI18scatter_to_stripedN15benchmark_utils11custom_typeIffEELj256ELj7ELj100EEvPKT0_PKjPS4_.numbered_sgpr, 10
	.set _Z6kernelI18scatter_to_stripedN15benchmark_utils11custom_typeIffEELj256ELj7ELj100EEvPKT0_PKjPS4_.num_named_barrier, 0
	.set _Z6kernelI18scatter_to_stripedN15benchmark_utils11custom_typeIffEELj256ELj7ELj100EEvPKT0_PKjPS4_.private_seg_size, 0
	.set _Z6kernelI18scatter_to_stripedN15benchmark_utils11custom_typeIffEELj256ELj7ELj100EEvPKT0_PKjPS4_.uses_vcc, 0
	.set _Z6kernelI18scatter_to_stripedN15benchmark_utils11custom_typeIffEELj256ELj7ELj100EEvPKT0_PKjPS4_.uses_flat_scratch, 0
	.set _Z6kernelI18scatter_to_stripedN15benchmark_utils11custom_typeIffEELj256ELj7ELj100EEvPKT0_PKjPS4_.has_dyn_sized_stack, 0
	.set _Z6kernelI18scatter_to_stripedN15benchmark_utils11custom_typeIffEELj256ELj7ELj100EEvPKT0_PKjPS4_.has_recursion, 0
	.set _Z6kernelI18scatter_to_stripedN15benchmark_utils11custom_typeIffEELj256ELj7ELj100EEvPKT0_PKjPS4_.has_indirect_call, 0
	.section	.AMDGPU.csdata,"",@progbits
; Kernel info:
; codeLenInByte = 564
; TotalNumSgprs: 10
; NumVgprs: 23
; ScratchSize: 0
; MemoryBound: 1
; FloatMode: 240
; IeeeMode: 1
; LDSByteSize: 14336 bytes/workgroup (compile time only)
; SGPRBlocks: 0
; VGPRBlocks: 1
; NumSGPRsForWavesPerEU: 10
; NumVGPRsForWavesPerEU: 23
; NamedBarCnt: 0
; Occupancy: 16
; WaveLimiterHint : 1
; COMPUTE_PGM_RSRC2:SCRATCH_EN: 0
; COMPUTE_PGM_RSRC2:USER_SGPR: 2
; COMPUTE_PGM_RSRC2:TRAP_HANDLER: 0
; COMPUTE_PGM_RSRC2:TGID_X_EN: 1
; COMPUTE_PGM_RSRC2:TGID_Y_EN: 0
; COMPUTE_PGM_RSRC2:TGID_Z_EN: 0
; COMPUTE_PGM_RSRC2:TIDIG_COMP_CNT: 0
	.section	.text._Z6kernelI18scatter_to_stripedN15benchmark_utils11custom_typeIffEELj256ELj8ELj100EEvPKT0_PKjPS4_,"axG",@progbits,_Z6kernelI18scatter_to_stripedN15benchmark_utils11custom_typeIffEELj256ELj8ELj100EEvPKT0_PKjPS4_,comdat
	.protected	_Z6kernelI18scatter_to_stripedN15benchmark_utils11custom_typeIffEELj256ELj8ELj100EEvPKT0_PKjPS4_ ; -- Begin function _Z6kernelI18scatter_to_stripedN15benchmark_utils11custom_typeIffEELj256ELj8ELj100EEvPKT0_PKjPS4_
	.globl	_Z6kernelI18scatter_to_stripedN15benchmark_utils11custom_typeIffEELj256ELj8ELj100EEvPKT0_PKjPS4_
	.p2align	8
	.type	_Z6kernelI18scatter_to_stripedN15benchmark_utils11custom_typeIffEELj256ELj8ELj100EEvPKT0_PKjPS4_,@function
_Z6kernelI18scatter_to_stripedN15benchmark_utils11custom_typeIffEELj256ELj8ELj100EEvPKT0_PKjPS4_: ; @_Z6kernelI18scatter_to_stripedN15benchmark_utils11custom_typeIffEELj256ELj8ELj100EEvPKT0_PKjPS4_
; %bb.0:
	s_load_b128 s[4:7], s[0:1], 0x0
	s_bfe_u32 s2, ttmp6, 0x4000c
	s_and_b32 s3, ttmp6, 15
	s_add_co_i32 s2, s2, 1
	s_getreg_b32 s8, hwreg(HW_REG_IB_STS2, 6, 4)
	s_mul_i32 s2, ttmp9, s2
	s_wait_xcnt 0x0
	s_load_b64 s[0:1], s[0:1], 0x10
	s_add_co_i32 s3, s3, s2
	s_cmp_eq_u32 s8, 0
	v_lshlrev_b32_e32 v25, 3, v0
	s_cselect_b32 s2, ttmp9, s3
	s_mov_b32 s3, 0
	s_lshl_b32 s2, s2, 11
	s_delay_alu instid0(SALU_CYCLE_1)
	s_lshl_b64 s[8:9], s[2:3], 2
	s_lshl_b64 s[2:3], s[2:3], 3
	s_wait_kmcnt 0x0
	s_add_nc_u64 s[6:7], s[6:7], s[8:9]
	s_add_nc_u64 s[4:5], s[4:5], s[2:3]
	s_clause 0xf
	global_load_b32 v1, v0, s[6:7] scale_offset
	global_load_b32 v18, v0, s[6:7] offset:1024 scale_offset
	global_load_b32 v19, v0, s[6:7] offset:2048 scale_offset
	;; [unrolled: 1-line block ×7, first 2 shown]
	global_load_b64 v[2:3], v0, s[4:5] scale_offset
	global_load_b64 v[4:5], v0, s[4:5] offset:2048 scale_offset
	global_load_b64 v[6:7], v0, s[4:5] offset:4096 scale_offset
	global_load_b64 v[8:9], v0, s[4:5] offset:6144 scale_offset
	global_load_b64 v[10:11], v0, s[4:5] offset:8192 scale_offset
	global_load_b64 v[12:13], v0, s[4:5] offset:10240 scale_offset
	global_load_b64 v[14:15], v0, s[4:5] offset:12288 scale_offset
	; meta instruction
	global_load_b64 v[16:17], v0, s[4:5] offset:14336 scale_offset
	s_wait_xcnt 0x0
	s_movk_i32 s4, 0x64
	s_wait_loadcnt 0xe
	v_dual_lshlrev_b32 v1, 3, v1 :: v_dual_lshlrev_b32 v18, 3, v18
	s_wait_loadcnt 0xc
	v_dual_lshlrev_b32 v19, 3, v19 :: v_dual_lshlrev_b32 v20, 3, v20
	;; [unrolled: 2-line block ×4, first 2 shown]
.LBB173_1:                              ; =>This Inner Loop Header: Depth=1
	s_wait_loadcnt 0x7
	ds_store_b64 v1, v[2:3]
	s_wait_loadcnt 0x6
	ds_store_b64 v18, v[4:5]
	;; [unrolled: 2-line block ×8, first 2 shown]
	s_wait_dscnt 0x0
	s_barrier_signal -1
	s_barrier_wait -1
	ds_load_2addr_stride64_b64 v[2:5], v25 offset1:4
	ds_load_2addr_stride64_b64 v[6:9], v25 offset0:8 offset1:12
	ds_load_2addr_stride64_b64 v[10:13], v25 offset0:16 offset1:20
	;; [unrolled: 1-line block ×3, first 2 shown]
	s_add_co_i32 s4, s4, -1
	s_wait_dscnt 0x0
	s_cmp_lg_u32 s4, 0
	s_barrier_signal -1
	s_barrier_wait -1
	s_cbranch_scc1 .LBB173_1
; %bb.2:
	s_add_nc_u64 s[0:1], s[0:1], s[2:3]
	s_clause 0x7
	global_store_b64 v0, v[2:3], s[0:1] scale_offset
	global_store_b64 v0, v[4:5], s[0:1] offset:2048 scale_offset
	global_store_b64 v0, v[6:7], s[0:1] offset:4096 scale_offset
	;; [unrolled: 1-line block ×7, first 2 shown]
	s_endpgm
	.section	.rodata,"a",@progbits
	.p2align	6, 0x0
	.amdhsa_kernel _Z6kernelI18scatter_to_stripedN15benchmark_utils11custom_typeIffEELj256ELj8ELj100EEvPKT0_PKjPS4_
		.amdhsa_group_segment_fixed_size 16896
		.amdhsa_private_segment_fixed_size 0
		.amdhsa_kernarg_size 24
		.amdhsa_user_sgpr_count 2
		.amdhsa_user_sgpr_dispatch_ptr 0
		.amdhsa_user_sgpr_queue_ptr 0
		.amdhsa_user_sgpr_kernarg_segment_ptr 1
		.amdhsa_user_sgpr_dispatch_id 0
		.amdhsa_user_sgpr_kernarg_preload_length 0
		.amdhsa_user_sgpr_kernarg_preload_offset 0
		.amdhsa_user_sgpr_private_segment_size 0
		.amdhsa_wavefront_size32 1
		.amdhsa_uses_dynamic_stack 0
		.amdhsa_enable_private_segment 0
		.amdhsa_system_sgpr_workgroup_id_x 1
		.amdhsa_system_sgpr_workgroup_id_y 0
		.amdhsa_system_sgpr_workgroup_id_z 0
		.amdhsa_system_sgpr_workgroup_info 0
		.amdhsa_system_vgpr_workitem_id 0
		.amdhsa_next_free_vgpr 26
		.amdhsa_next_free_sgpr 10
		.amdhsa_named_barrier_count 0
		.amdhsa_reserve_vcc 0
		.amdhsa_float_round_mode_32 0
		.amdhsa_float_round_mode_16_64 0
		.amdhsa_float_denorm_mode_32 3
		.amdhsa_float_denorm_mode_16_64 3
		.amdhsa_fp16_overflow 0
		.amdhsa_memory_ordered 1
		.amdhsa_forward_progress 1
		.amdhsa_inst_pref_size 5
		.amdhsa_round_robin_scheduling 0
		.amdhsa_exception_fp_ieee_invalid_op 0
		.amdhsa_exception_fp_denorm_src 0
		.amdhsa_exception_fp_ieee_div_zero 0
		.amdhsa_exception_fp_ieee_overflow 0
		.amdhsa_exception_fp_ieee_underflow 0
		.amdhsa_exception_fp_ieee_inexact 0
		.amdhsa_exception_int_div_zero 0
	.end_amdhsa_kernel
	.section	.text._Z6kernelI18scatter_to_stripedN15benchmark_utils11custom_typeIffEELj256ELj8ELj100EEvPKT0_PKjPS4_,"axG",@progbits,_Z6kernelI18scatter_to_stripedN15benchmark_utils11custom_typeIffEELj256ELj8ELj100EEvPKT0_PKjPS4_,comdat
.Lfunc_end173:
	.size	_Z6kernelI18scatter_to_stripedN15benchmark_utils11custom_typeIffEELj256ELj8ELj100EEvPKT0_PKjPS4_, .Lfunc_end173-_Z6kernelI18scatter_to_stripedN15benchmark_utils11custom_typeIffEELj256ELj8ELj100EEvPKT0_PKjPS4_
                                        ; -- End function
	.set _Z6kernelI18scatter_to_stripedN15benchmark_utils11custom_typeIffEELj256ELj8ELj100EEvPKT0_PKjPS4_.num_vgpr, 26
	.set _Z6kernelI18scatter_to_stripedN15benchmark_utils11custom_typeIffEELj256ELj8ELj100EEvPKT0_PKjPS4_.num_agpr, 0
	.set _Z6kernelI18scatter_to_stripedN15benchmark_utils11custom_typeIffEELj256ELj8ELj100EEvPKT0_PKjPS4_.numbered_sgpr, 10
	.set _Z6kernelI18scatter_to_stripedN15benchmark_utils11custom_typeIffEELj256ELj8ELj100EEvPKT0_PKjPS4_.num_named_barrier, 0
	.set _Z6kernelI18scatter_to_stripedN15benchmark_utils11custom_typeIffEELj256ELj8ELj100EEvPKT0_PKjPS4_.private_seg_size, 0
	.set _Z6kernelI18scatter_to_stripedN15benchmark_utils11custom_typeIffEELj256ELj8ELj100EEvPKT0_PKjPS4_.uses_vcc, 0
	.set _Z6kernelI18scatter_to_stripedN15benchmark_utils11custom_typeIffEELj256ELj8ELj100EEvPKT0_PKjPS4_.uses_flat_scratch, 0
	.set _Z6kernelI18scatter_to_stripedN15benchmark_utils11custom_typeIffEELj256ELj8ELj100EEvPKT0_PKjPS4_.has_dyn_sized_stack, 0
	.set _Z6kernelI18scatter_to_stripedN15benchmark_utils11custom_typeIffEELj256ELj8ELj100EEvPKT0_PKjPS4_.has_recursion, 0
	.set _Z6kernelI18scatter_to_stripedN15benchmark_utils11custom_typeIffEELj256ELj8ELj100EEvPKT0_PKjPS4_.has_indirect_call, 0
	.section	.AMDGPU.csdata,"",@progbits
; Kernel info:
; codeLenInByte = 632
; TotalNumSgprs: 10
; NumVgprs: 26
; ScratchSize: 0
; MemoryBound: 1
; FloatMode: 240
; IeeeMode: 1
; LDSByteSize: 16896 bytes/workgroup (compile time only)
; SGPRBlocks: 0
; VGPRBlocks: 1
; NumSGPRsForWavesPerEU: 10
; NumVGPRsForWavesPerEU: 26
; NamedBarCnt: 0
; Occupancy: 16
; WaveLimiterHint : 1
; COMPUTE_PGM_RSRC2:SCRATCH_EN: 0
; COMPUTE_PGM_RSRC2:USER_SGPR: 2
; COMPUTE_PGM_RSRC2:TRAP_HANDLER: 0
; COMPUTE_PGM_RSRC2:TGID_X_EN: 1
; COMPUTE_PGM_RSRC2:TGID_Y_EN: 0
; COMPUTE_PGM_RSRC2:TGID_Z_EN: 0
; COMPUTE_PGM_RSRC2:TIDIG_COMP_CNT: 0
	.section	.text._Z6kernelI18scatter_to_stripedN15benchmark_utils11custom_typeIddEELj256ELj1ELj100EEvPKT0_PKjPS4_,"axG",@progbits,_Z6kernelI18scatter_to_stripedN15benchmark_utils11custom_typeIddEELj256ELj1ELj100EEvPKT0_PKjPS4_,comdat
	.protected	_Z6kernelI18scatter_to_stripedN15benchmark_utils11custom_typeIddEELj256ELj1ELj100EEvPKT0_PKjPS4_ ; -- Begin function _Z6kernelI18scatter_to_stripedN15benchmark_utils11custom_typeIddEELj256ELj1ELj100EEvPKT0_PKjPS4_
	.globl	_Z6kernelI18scatter_to_stripedN15benchmark_utils11custom_typeIddEELj256ELj1ELj100EEvPKT0_PKjPS4_
	.p2align	8
	.type	_Z6kernelI18scatter_to_stripedN15benchmark_utils11custom_typeIddEELj256ELj1ELj100EEvPKT0_PKjPS4_,@function
_Z6kernelI18scatter_to_stripedN15benchmark_utils11custom_typeIddEELj256ELj1ELj100EEvPKT0_PKjPS4_: ; @_Z6kernelI18scatter_to_stripedN15benchmark_utils11custom_typeIddEELj256ELj1ELj100EEvPKT0_PKjPS4_
; %bb.0:
	s_load_b128 s[4:7], s[0:1], 0x0
	s_bfe_u32 s2, ttmp6, 0x4000c
	s_and_b32 s3, ttmp6, 15
	s_add_co_i32 s2, s2, 1
	s_getreg_b32 s8, hwreg(HW_REG_IB_STS2, 6, 4)
	s_mul_i32 s2, ttmp9, s2
	s_wait_xcnt 0x0
	s_load_b64 s[0:1], s[0:1], 0x10
	s_add_co_i32 s3, s3, s2
	s_cmp_eq_u32 s8, 0
	v_lshlrev_b32_e32 v6, 4, v0
	s_cselect_b32 s2, ttmp9, s3
	s_mov_b32 s3, 0
	s_lshl_b32 s2, s2, 8
	s_delay_alu instid0(SALU_CYCLE_1)
	s_lshl_b64 s[8:9], s[2:3], 2
	s_lshl_b64 s[2:3], s[2:3], 4
	s_wait_kmcnt 0x0
	s_add_nc_u64 s[6:7], s[6:7], s[8:9]
	s_add_nc_u64 s[4:5], s[4:5], s[2:3]
	s_clause 0x1
	global_load_b32 v1, v0, s[6:7] scale_offset
	global_load_b128 v[2:5], v0, s[4:5] scale_offset
	s_wait_xcnt 0x0
	s_movk_i32 s4, 0x64
	s_wait_loadcnt 0x1
	v_lshlrev_b32_e32 v1, 4, v1
.LBB174_1:                              ; =>This Inner Loop Header: Depth=1
	s_wait_loadcnt 0x0
	ds_store_b128 v1, v[2:5]
	s_wait_dscnt 0x0
	s_barrier_signal -1
	s_barrier_wait -1
	ds_load_b128 v[2:5], v6
	s_add_co_i32 s4, s4, -1
	s_wait_dscnt 0x0
	s_cmp_lg_u32 s4, 0
	s_barrier_signal -1
	s_barrier_wait -1
	s_cbranch_scc1 .LBB174_1
; %bb.2:
	s_add_nc_u64 s[0:1], s[0:1], s[2:3]
	global_store_b128 v0, v[2:5], s[0:1] scale_offset
	s_endpgm
	.section	.rodata,"a",@progbits
	.p2align	6, 0x0
	.amdhsa_kernel _Z6kernelI18scatter_to_stripedN15benchmark_utils11custom_typeIddEELj256ELj1ELj100EEvPKT0_PKjPS4_
		.amdhsa_group_segment_fixed_size 4096
		.amdhsa_private_segment_fixed_size 0
		.amdhsa_kernarg_size 24
		.amdhsa_user_sgpr_count 2
		.amdhsa_user_sgpr_dispatch_ptr 0
		.amdhsa_user_sgpr_queue_ptr 0
		.amdhsa_user_sgpr_kernarg_segment_ptr 1
		.amdhsa_user_sgpr_dispatch_id 0
		.amdhsa_user_sgpr_kernarg_preload_length 0
		.amdhsa_user_sgpr_kernarg_preload_offset 0
		.amdhsa_user_sgpr_private_segment_size 0
		.amdhsa_wavefront_size32 1
		.amdhsa_uses_dynamic_stack 0
		.amdhsa_enable_private_segment 0
		.amdhsa_system_sgpr_workgroup_id_x 1
		.amdhsa_system_sgpr_workgroup_id_y 0
		.amdhsa_system_sgpr_workgroup_id_z 0
		.amdhsa_system_sgpr_workgroup_info 0
		.amdhsa_system_vgpr_workitem_id 0
		.amdhsa_next_free_vgpr 7
		.amdhsa_next_free_sgpr 10
		.amdhsa_named_barrier_count 0
		.amdhsa_reserve_vcc 0
		.amdhsa_float_round_mode_32 0
		.amdhsa_float_round_mode_16_64 0
		.amdhsa_float_denorm_mode_32 3
		.amdhsa_float_denorm_mode_16_64 3
		.amdhsa_fp16_overflow 0
		.amdhsa_memory_ordered 1
		.amdhsa_forward_progress 1
		.amdhsa_inst_pref_size 2
		.amdhsa_round_robin_scheduling 0
		.amdhsa_exception_fp_ieee_invalid_op 0
		.amdhsa_exception_fp_denorm_src 0
		.amdhsa_exception_fp_ieee_div_zero 0
		.amdhsa_exception_fp_ieee_overflow 0
		.amdhsa_exception_fp_ieee_underflow 0
		.amdhsa_exception_fp_ieee_inexact 0
		.amdhsa_exception_int_div_zero 0
	.end_amdhsa_kernel
	.section	.text._Z6kernelI18scatter_to_stripedN15benchmark_utils11custom_typeIddEELj256ELj1ELj100EEvPKT0_PKjPS4_,"axG",@progbits,_Z6kernelI18scatter_to_stripedN15benchmark_utils11custom_typeIddEELj256ELj1ELj100EEvPKT0_PKjPS4_,comdat
.Lfunc_end174:
	.size	_Z6kernelI18scatter_to_stripedN15benchmark_utils11custom_typeIddEELj256ELj1ELj100EEvPKT0_PKjPS4_, .Lfunc_end174-_Z6kernelI18scatter_to_stripedN15benchmark_utils11custom_typeIddEELj256ELj1ELj100EEvPKT0_PKjPS4_
                                        ; -- End function
	.set _Z6kernelI18scatter_to_stripedN15benchmark_utils11custom_typeIddEELj256ELj1ELj100EEvPKT0_PKjPS4_.num_vgpr, 7
	.set _Z6kernelI18scatter_to_stripedN15benchmark_utils11custom_typeIddEELj256ELj1ELj100EEvPKT0_PKjPS4_.num_agpr, 0
	.set _Z6kernelI18scatter_to_stripedN15benchmark_utils11custom_typeIddEELj256ELj1ELj100EEvPKT0_PKjPS4_.numbered_sgpr, 10
	.set _Z6kernelI18scatter_to_stripedN15benchmark_utils11custom_typeIddEELj256ELj1ELj100EEvPKT0_PKjPS4_.num_named_barrier, 0
	.set _Z6kernelI18scatter_to_stripedN15benchmark_utils11custom_typeIddEELj256ELj1ELj100EEvPKT0_PKjPS4_.private_seg_size, 0
	.set _Z6kernelI18scatter_to_stripedN15benchmark_utils11custom_typeIddEELj256ELj1ELj100EEvPKT0_PKjPS4_.uses_vcc, 0
	.set _Z6kernelI18scatter_to_stripedN15benchmark_utils11custom_typeIddEELj256ELj1ELj100EEvPKT0_PKjPS4_.uses_flat_scratch, 0
	.set _Z6kernelI18scatter_to_stripedN15benchmark_utils11custom_typeIddEELj256ELj1ELj100EEvPKT0_PKjPS4_.has_dyn_sized_stack, 0
	.set _Z6kernelI18scatter_to_stripedN15benchmark_utils11custom_typeIddEELj256ELj1ELj100EEvPKT0_PKjPS4_.has_recursion, 0
	.set _Z6kernelI18scatter_to_stripedN15benchmark_utils11custom_typeIddEELj256ELj1ELj100EEvPKT0_PKjPS4_.has_indirect_call, 0
	.section	.AMDGPU.csdata,"",@progbits
; Kernel info:
; codeLenInByte = 212
; TotalNumSgprs: 10
; NumVgprs: 7
; ScratchSize: 0
; MemoryBound: 0
; FloatMode: 240
; IeeeMode: 1
; LDSByteSize: 4096 bytes/workgroup (compile time only)
; SGPRBlocks: 0
; VGPRBlocks: 0
; NumSGPRsForWavesPerEU: 10
; NumVGPRsForWavesPerEU: 7
; NamedBarCnt: 0
; Occupancy: 16
; WaveLimiterHint : 0
; COMPUTE_PGM_RSRC2:SCRATCH_EN: 0
; COMPUTE_PGM_RSRC2:USER_SGPR: 2
; COMPUTE_PGM_RSRC2:TRAP_HANDLER: 0
; COMPUTE_PGM_RSRC2:TGID_X_EN: 1
; COMPUTE_PGM_RSRC2:TGID_Y_EN: 0
; COMPUTE_PGM_RSRC2:TGID_Z_EN: 0
; COMPUTE_PGM_RSRC2:TIDIG_COMP_CNT: 0
	.section	.text._Z6kernelI18scatter_to_stripedN15benchmark_utils11custom_typeIddEELj256ELj2ELj100EEvPKT0_PKjPS4_,"axG",@progbits,_Z6kernelI18scatter_to_stripedN15benchmark_utils11custom_typeIddEELj256ELj2ELj100EEvPKT0_PKjPS4_,comdat
	.protected	_Z6kernelI18scatter_to_stripedN15benchmark_utils11custom_typeIddEELj256ELj2ELj100EEvPKT0_PKjPS4_ ; -- Begin function _Z6kernelI18scatter_to_stripedN15benchmark_utils11custom_typeIddEELj256ELj2ELj100EEvPKT0_PKjPS4_
	.globl	_Z6kernelI18scatter_to_stripedN15benchmark_utils11custom_typeIddEELj256ELj2ELj100EEvPKT0_PKjPS4_
	.p2align	8
	.type	_Z6kernelI18scatter_to_stripedN15benchmark_utils11custom_typeIddEELj256ELj2ELj100EEvPKT0_PKjPS4_,@function
_Z6kernelI18scatter_to_stripedN15benchmark_utils11custom_typeIddEELj256ELj2ELj100EEvPKT0_PKjPS4_: ; @_Z6kernelI18scatter_to_stripedN15benchmark_utils11custom_typeIddEELj256ELj2ELj100EEvPKT0_PKjPS4_
; %bb.0:
	s_load_b128 s[4:7], s[0:1], 0x0
	s_bfe_u32 s2, ttmp6, 0x4000c
	s_and_b32 s3, ttmp6, 15
	s_add_co_i32 s2, s2, 1
	s_getreg_b32 s8, hwreg(HW_REG_IB_STS2, 6, 4)
	s_mul_i32 s2, ttmp9, s2
	s_wait_xcnt 0x0
	s_load_b64 s[0:1], s[0:1], 0x10
	s_add_co_i32 s3, s3, s2
	s_cmp_eq_u32 s8, 0
	v_lshlrev_b32_e32 v11, 4, v0
	s_cselect_b32 s2, ttmp9, s3
	s_mov_b32 s3, 0
	s_lshl_b32 s2, s2, 9
	s_delay_alu instid0(SALU_CYCLE_1)
	s_lshl_b64 s[8:9], s[2:3], 2
	s_lshl_b64 s[2:3], s[2:3], 4
	s_wait_kmcnt 0x0
	s_add_nc_u64 s[6:7], s[6:7], s[8:9]
	s_add_nc_u64 s[4:5], s[4:5], s[2:3]
	s_clause 0x3
	global_load_b32 v1, v0, s[6:7] scale_offset
	global_load_b32 v10, v0, s[6:7] offset:1024 scale_offset
	global_load_b128 v[6:9], v0, s[4:5] scale_offset
	global_load_b128 v[2:5], v0, s[4:5] offset:4096 scale_offset
	s_wait_xcnt 0x0
	s_movk_i32 s4, 0x64
	s_wait_loadcnt 0x2
	v_dual_lshlrev_b32 v1, 4, v1 :: v_dual_lshlrev_b32 v10, 4, v10
.LBB175_1:                              ; =>This Inner Loop Header: Depth=1
	s_wait_loadcnt 0x1
	ds_store_b128 v1, v[6:9]
	s_wait_loadcnt 0x0
	ds_store_b128 v10, v[2:5]
	s_wait_dscnt 0x0
	s_barrier_signal -1
	s_barrier_wait -1
	ds_load_b128 v[6:9], v11
	ds_load_b128 v[2:5], v11 offset:4096
	s_add_co_i32 s4, s4, -1
	s_wait_dscnt 0x0
	s_cmp_lg_u32 s4, 0
	s_barrier_signal -1
	s_barrier_wait -1
	s_cbranch_scc1 .LBB175_1
; %bb.2:
	s_add_nc_u64 s[0:1], s[0:1], s[2:3]
	s_clause 0x1
	global_store_b128 v0, v[6:9], s[0:1] scale_offset
	global_store_b128 v0, v[2:5], s[0:1] offset:4096 scale_offset
	s_endpgm
	.section	.rodata,"a",@progbits
	.p2align	6, 0x0
	.amdhsa_kernel _Z6kernelI18scatter_to_stripedN15benchmark_utils11custom_typeIddEELj256ELj2ELj100EEvPKT0_PKjPS4_
		.amdhsa_group_segment_fixed_size 8448
		.amdhsa_private_segment_fixed_size 0
		.amdhsa_kernarg_size 24
		.amdhsa_user_sgpr_count 2
		.amdhsa_user_sgpr_dispatch_ptr 0
		.amdhsa_user_sgpr_queue_ptr 0
		.amdhsa_user_sgpr_kernarg_segment_ptr 1
		.amdhsa_user_sgpr_dispatch_id 0
		.amdhsa_user_sgpr_kernarg_preload_length 0
		.amdhsa_user_sgpr_kernarg_preload_offset 0
		.amdhsa_user_sgpr_private_segment_size 0
		.amdhsa_wavefront_size32 1
		.amdhsa_uses_dynamic_stack 0
		.amdhsa_enable_private_segment 0
		.amdhsa_system_sgpr_workgroup_id_x 1
		.amdhsa_system_sgpr_workgroup_id_y 0
		.amdhsa_system_sgpr_workgroup_id_z 0
		.amdhsa_system_sgpr_workgroup_info 0
		.amdhsa_system_vgpr_workitem_id 0
		.amdhsa_next_free_vgpr 12
		.amdhsa_next_free_sgpr 10
		.amdhsa_named_barrier_count 0
		.amdhsa_reserve_vcc 0
		.amdhsa_float_round_mode_32 0
		.amdhsa_float_round_mode_16_64 0
		.amdhsa_float_denorm_mode_32 3
		.amdhsa_float_denorm_mode_16_64 3
		.amdhsa_fp16_overflow 0
		.amdhsa_memory_ordered 1
		.amdhsa_forward_progress 1
		.amdhsa_inst_pref_size 3
		.amdhsa_round_robin_scheduling 0
		.amdhsa_exception_fp_ieee_invalid_op 0
		.amdhsa_exception_fp_denorm_src 0
		.amdhsa_exception_fp_ieee_div_zero 0
		.amdhsa_exception_fp_ieee_overflow 0
		.amdhsa_exception_fp_ieee_underflow 0
		.amdhsa_exception_fp_ieee_inexact 0
		.amdhsa_exception_int_div_zero 0
	.end_amdhsa_kernel
	.section	.text._Z6kernelI18scatter_to_stripedN15benchmark_utils11custom_typeIddEELj256ELj2ELj100EEvPKT0_PKjPS4_,"axG",@progbits,_Z6kernelI18scatter_to_stripedN15benchmark_utils11custom_typeIddEELj256ELj2ELj100EEvPKT0_PKjPS4_,comdat
.Lfunc_end175:
	.size	_Z6kernelI18scatter_to_stripedN15benchmark_utils11custom_typeIddEELj256ELj2ELj100EEvPKT0_PKjPS4_, .Lfunc_end175-_Z6kernelI18scatter_to_stripedN15benchmark_utils11custom_typeIddEELj256ELj2ELj100EEvPKT0_PKjPS4_
                                        ; -- End function
	.set _Z6kernelI18scatter_to_stripedN15benchmark_utils11custom_typeIddEELj256ELj2ELj100EEvPKT0_PKjPS4_.num_vgpr, 12
	.set _Z6kernelI18scatter_to_stripedN15benchmark_utils11custom_typeIddEELj256ELj2ELj100EEvPKT0_PKjPS4_.num_agpr, 0
	.set _Z6kernelI18scatter_to_stripedN15benchmark_utils11custom_typeIddEELj256ELj2ELj100EEvPKT0_PKjPS4_.numbered_sgpr, 10
	.set _Z6kernelI18scatter_to_stripedN15benchmark_utils11custom_typeIddEELj256ELj2ELj100EEvPKT0_PKjPS4_.num_named_barrier, 0
	.set _Z6kernelI18scatter_to_stripedN15benchmark_utils11custom_typeIddEELj256ELj2ELj100EEvPKT0_PKjPS4_.private_seg_size, 0
	.set _Z6kernelI18scatter_to_stripedN15benchmark_utils11custom_typeIddEELj256ELj2ELj100EEvPKT0_PKjPS4_.uses_vcc, 0
	.set _Z6kernelI18scatter_to_stripedN15benchmark_utils11custom_typeIddEELj256ELj2ELj100EEvPKT0_PKjPS4_.uses_flat_scratch, 0
	.set _Z6kernelI18scatter_to_stripedN15benchmark_utils11custom_typeIddEELj256ELj2ELj100EEvPKT0_PKjPS4_.has_dyn_sized_stack, 0
	.set _Z6kernelI18scatter_to_stripedN15benchmark_utils11custom_typeIddEELj256ELj2ELj100EEvPKT0_PKjPS4_.has_recursion, 0
	.set _Z6kernelI18scatter_to_stripedN15benchmark_utils11custom_typeIddEELj256ELj2ELj100EEvPKT0_PKjPS4_.has_indirect_call, 0
	.section	.AMDGPU.csdata,"",@progbits
; Kernel info:
; codeLenInByte = 280
; TotalNumSgprs: 10
; NumVgprs: 12
; ScratchSize: 0
; MemoryBound: 0
; FloatMode: 240
; IeeeMode: 1
; LDSByteSize: 8448 bytes/workgroup (compile time only)
; SGPRBlocks: 0
; VGPRBlocks: 0
; NumSGPRsForWavesPerEU: 10
; NumVGPRsForWavesPerEU: 12
; NamedBarCnt: 0
; Occupancy: 16
; WaveLimiterHint : 1
; COMPUTE_PGM_RSRC2:SCRATCH_EN: 0
; COMPUTE_PGM_RSRC2:USER_SGPR: 2
; COMPUTE_PGM_RSRC2:TRAP_HANDLER: 0
; COMPUTE_PGM_RSRC2:TGID_X_EN: 1
; COMPUTE_PGM_RSRC2:TGID_Y_EN: 0
; COMPUTE_PGM_RSRC2:TGID_Z_EN: 0
; COMPUTE_PGM_RSRC2:TIDIG_COMP_CNT: 0
	.section	.text._Z6kernelI18scatter_to_stripedN15benchmark_utils11custom_typeIddEELj256ELj3ELj100EEvPKT0_PKjPS4_,"axG",@progbits,_Z6kernelI18scatter_to_stripedN15benchmark_utils11custom_typeIddEELj256ELj3ELj100EEvPKT0_PKjPS4_,comdat
	.protected	_Z6kernelI18scatter_to_stripedN15benchmark_utils11custom_typeIddEELj256ELj3ELj100EEvPKT0_PKjPS4_ ; -- Begin function _Z6kernelI18scatter_to_stripedN15benchmark_utils11custom_typeIddEELj256ELj3ELj100EEvPKT0_PKjPS4_
	.globl	_Z6kernelI18scatter_to_stripedN15benchmark_utils11custom_typeIddEELj256ELj3ELj100EEvPKT0_PKjPS4_
	.p2align	8
	.type	_Z6kernelI18scatter_to_stripedN15benchmark_utils11custom_typeIddEELj256ELj3ELj100EEvPKT0_PKjPS4_,@function
_Z6kernelI18scatter_to_stripedN15benchmark_utils11custom_typeIddEELj256ELj3ELj100EEvPKT0_PKjPS4_: ; @_Z6kernelI18scatter_to_stripedN15benchmark_utils11custom_typeIddEELj256ELj3ELj100EEvPKT0_PKjPS4_
; %bb.0:
	s_load_b128 s[4:7], s[0:1], 0x0
	s_bfe_u32 s2, ttmp6, 0x4000c
	s_and_b32 s3, ttmp6, 15
	s_add_co_i32 s2, s2, 1
	s_getreg_b32 s8, hwreg(HW_REG_IB_STS2, 6, 4)
	s_mul_i32 s2, ttmp9, s2
	s_wait_xcnt 0x0
	s_load_b64 s[0:1], s[0:1], 0x10
	s_add_co_i32 s3, s3, s2
	s_cmp_eq_u32 s8, 0
	v_lshlrev_b32_e32 v16, 4, v0
	s_cselect_b32 s2, ttmp9, s3
	s_mov_b32 s3, 0
	s_mulk_i32 s2, 0x300
	s_delay_alu instid0(SALU_CYCLE_1)
	s_lshl_b64 s[8:9], s[2:3], 2
	s_lshl_b64 s[2:3], s[2:3], 4
	s_wait_kmcnt 0x0
	s_add_nc_u64 s[6:7], s[6:7], s[8:9]
	s_clause 0x2
	global_load_b32 v1, v0, s[6:7] scale_offset
	global_load_b32 v14, v0, s[6:7] offset:1024 scale_offset
	global_load_b32 v15, v0, s[6:7] offset:2048 scale_offset
	s_add_nc_u64 s[4:5], s[4:5], s[2:3]
	s_clause 0x2
	global_load_b128 v[2:5], v0, s[4:5] offset:8192 scale_offset
	global_load_b128 v[10:13], v0, s[4:5] scale_offset
	global_load_b128 v[6:9], v0, s[4:5] offset:4096 scale_offset
	s_wait_xcnt 0x0
	s_movk_i32 s4, 0x64
	s_wait_loadcnt 0x4
	v_dual_lshlrev_b32 v1, 4, v1 :: v_dual_lshlrev_b32 v14, 4, v14
	s_wait_loadcnt 0x3
	v_lshlrev_b32_e32 v15, 4, v15
.LBB176_1:                              ; =>This Inner Loop Header: Depth=1
	s_wait_loadcnt 0x1
	ds_store_b128 v1, v[10:13]
	s_wait_loadcnt 0x0
	ds_store_b128 v14, v[6:9]
	ds_store_b128 v15, v[2:5]
	s_wait_dscnt 0x0
	s_barrier_signal -1
	s_barrier_wait -1
	ds_load_b128 v[10:13], v16
	ds_load_b128 v[6:9], v16 offset:4096
	ds_load_b128 v[2:5], v16 offset:8192
	s_add_co_i32 s4, s4, -1
	s_wait_dscnt 0x0
	s_cmp_lg_u32 s4, 0
	s_barrier_signal -1
	s_barrier_wait -1
	s_cbranch_scc1 .LBB176_1
; %bb.2:
	s_add_nc_u64 s[0:1], s[0:1], s[2:3]
	s_clause 0x2
	global_store_b128 v0, v[10:13], s[0:1] scale_offset
	global_store_b128 v0, v[6:9], s[0:1] offset:4096 scale_offset
	global_store_b128 v0, v[2:5], s[0:1] offset:8192 scale_offset
	s_endpgm
	.section	.rodata,"a",@progbits
	.p2align	6, 0x0
	.amdhsa_kernel _Z6kernelI18scatter_to_stripedN15benchmark_utils11custom_typeIddEELj256ELj3ELj100EEvPKT0_PKjPS4_
		.amdhsa_group_segment_fixed_size 12288
		.amdhsa_private_segment_fixed_size 0
		.amdhsa_kernarg_size 24
		.amdhsa_user_sgpr_count 2
		.amdhsa_user_sgpr_dispatch_ptr 0
		.amdhsa_user_sgpr_queue_ptr 0
		.amdhsa_user_sgpr_kernarg_segment_ptr 1
		.amdhsa_user_sgpr_dispatch_id 0
		.amdhsa_user_sgpr_kernarg_preload_length 0
		.amdhsa_user_sgpr_kernarg_preload_offset 0
		.amdhsa_user_sgpr_private_segment_size 0
		.amdhsa_wavefront_size32 1
		.amdhsa_uses_dynamic_stack 0
		.amdhsa_enable_private_segment 0
		.amdhsa_system_sgpr_workgroup_id_x 1
		.amdhsa_system_sgpr_workgroup_id_y 0
		.amdhsa_system_sgpr_workgroup_id_z 0
		.amdhsa_system_sgpr_workgroup_info 0
		.amdhsa_system_vgpr_workitem_id 0
		.amdhsa_next_free_vgpr 17
		.amdhsa_next_free_sgpr 10
		.amdhsa_named_barrier_count 0
		.amdhsa_reserve_vcc 0
		.amdhsa_float_round_mode_32 0
		.amdhsa_float_round_mode_16_64 0
		.amdhsa_float_denorm_mode_32 3
		.amdhsa_float_denorm_mode_16_64 3
		.amdhsa_fp16_overflow 0
		.amdhsa_memory_ordered 1
		.amdhsa_forward_progress 1
		.amdhsa_inst_pref_size 3
		.amdhsa_round_robin_scheduling 0
		.amdhsa_exception_fp_ieee_invalid_op 0
		.amdhsa_exception_fp_denorm_src 0
		.amdhsa_exception_fp_ieee_div_zero 0
		.amdhsa_exception_fp_ieee_overflow 0
		.amdhsa_exception_fp_ieee_underflow 0
		.amdhsa_exception_fp_ieee_inexact 0
		.amdhsa_exception_int_div_zero 0
	.end_amdhsa_kernel
	.section	.text._Z6kernelI18scatter_to_stripedN15benchmark_utils11custom_typeIddEELj256ELj3ELj100EEvPKT0_PKjPS4_,"axG",@progbits,_Z6kernelI18scatter_to_stripedN15benchmark_utils11custom_typeIddEELj256ELj3ELj100EEvPKT0_PKjPS4_,comdat
.Lfunc_end176:
	.size	_Z6kernelI18scatter_to_stripedN15benchmark_utils11custom_typeIddEELj256ELj3ELj100EEvPKT0_PKjPS4_, .Lfunc_end176-_Z6kernelI18scatter_to_stripedN15benchmark_utils11custom_typeIddEELj256ELj3ELj100EEvPKT0_PKjPS4_
                                        ; -- End function
	.set _Z6kernelI18scatter_to_stripedN15benchmark_utils11custom_typeIddEELj256ELj3ELj100EEvPKT0_PKjPS4_.num_vgpr, 17
	.set _Z6kernelI18scatter_to_stripedN15benchmark_utils11custom_typeIddEELj256ELj3ELj100EEvPKT0_PKjPS4_.num_agpr, 0
	.set _Z6kernelI18scatter_to_stripedN15benchmark_utils11custom_typeIddEELj256ELj3ELj100EEvPKT0_PKjPS4_.numbered_sgpr, 10
	.set _Z6kernelI18scatter_to_stripedN15benchmark_utils11custom_typeIddEELj256ELj3ELj100EEvPKT0_PKjPS4_.num_named_barrier, 0
	.set _Z6kernelI18scatter_to_stripedN15benchmark_utils11custom_typeIddEELj256ELj3ELj100EEvPKT0_PKjPS4_.private_seg_size, 0
	.set _Z6kernelI18scatter_to_stripedN15benchmark_utils11custom_typeIddEELj256ELj3ELj100EEvPKT0_PKjPS4_.uses_vcc, 0
	.set _Z6kernelI18scatter_to_stripedN15benchmark_utils11custom_typeIddEELj256ELj3ELj100EEvPKT0_PKjPS4_.uses_flat_scratch, 0
	.set _Z6kernelI18scatter_to_stripedN15benchmark_utils11custom_typeIddEELj256ELj3ELj100EEvPKT0_PKjPS4_.has_dyn_sized_stack, 0
	.set _Z6kernelI18scatter_to_stripedN15benchmark_utils11custom_typeIddEELj256ELj3ELj100EEvPKT0_PKjPS4_.has_recursion, 0
	.set _Z6kernelI18scatter_to_stripedN15benchmark_utils11custom_typeIddEELj256ELj3ELj100EEvPKT0_PKjPS4_.has_indirect_call, 0
	.section	.AMDGPU.csdata,"",@progbits
; Kernel info:
; codeLenInByte = 344
; TotalNumSgprs: 10
; NumVgprs: 17
; ScratchSize: 0
; MemoryBound: 0
; FloatMode: 240
; IeeeMode: 1
; LDSByteSize: 12288 bytes/workgroup (compile time only)
; SGPRBlocks: 0
; VGPRBlocks: 1
; NumSGPRsForWavesPerEU: 10
; NumVGPRsForWavesPerEU: 17
; NamedBarCnt: 0
; Occupancy: 16
; WaveLimiterHint : 1
; COMPUTE_PGM_RSRC2:SCRATCH_EN: 0
; COMPUTE_PGM_RSRC2:USER_SGPR: 2
; COMPUTE_PGM_RSRC2:TRAP_HANDLER: 0
; COMPUTE_PGM_RSRC2:TGID_X_EN: 1
; COMPUTE_PGM_RSRC2:TGID_Y_EN: 0
; COMPUTE_PGM_RSRC2:TGID_Z_EN: 0
; COMPUTE_PGM_RSRC2:TIDIG_COMP_CNT: 0
	.section	.text._Z6kernelI18scatter_to_stripedN15benchmark_utils11custom_typeIddEELj256ELj4ELj100EEvPKT0_PKjPS4_,"axG",@progbits,_Z6kernelI18scatter_to_stripedN15benchmark_utils11custom_typeIddEELj256ELj4ELj100EEvPKT0_PKjPS4_,comdat
	.protected	_Z6kernelI18scatter_to_stripedN15benchmark_utils11custom_typeIddEELj256ELj4ELj100EEvPKT0_PKjPS4_ ; -- Begin function _Z6kernelI18scatter_to_stripedN15benchmark_utils11custom_typeIddEELj256ELj4ELj100EEvPKT0_PKjPS4_
	.globl	_Z6kernelI18scatter_to_stripedN15benchmark_utils11custom_typeIddEELj256ELj4ELj100EEvPKT0_PKjPS4_
	.p2align	8
	.type	_Z6kernelI18scatter_to_stripedN15benchmark_utils11custom_typeIddEELj256ELj4ELj100EEvPKT0_PKjPS4_,@function
_Z6kernelI18scatter_to_stripedN15benchmark_utils11custom_typeIddEELj256ELj4ELj100EEvPKT0_PKjPS4_: ; @_Z6kernelI18scatter_to_stripedN15benchmark_utils11custom_typeIddEELj256ELj4ELj100EEvPKT0_PKjPS4_
; %bb.0:
	s_load_b128 s[4:7], s[0:1], 0x0
	s_bfe_u32 s2, ttmp6, 0x4000c
	s_and_b32 s3, ttmp6, 15
	s_add_co_i32 s2, s2, 1
	s_getreg_b32 s8, hwreg(HW_REG_IB_STS2, 6, 4)
	s_mul_i32 s2, ttmp9, s2
	s_wait_xcnt 0x0
	s_load_b64 s[0:1], s[0:1], 0x10
	s_add_co_i32 s3, s3, s2
	s_cmp_eq_u32 s8, 0
	v_lshlrev_b32_e32 v21, 4, v0
	s_cselect_b32 s2, ttmp9, s3
	s_mov_b32 s3, 0
	s_lshl_b32 s2, s2, 10
	s_delay_alu instid0(SALU_CYCLE_1)
	s_lshl_b64 s[8:9], s[2:3], 2
	s_lshl_b64 s[2:3], s[2:3], 4
	s_wait_kmcnt 0x0
	s_add_nc_u64 s[6:7], s[6:7], s[8:9]
	s_add_nc_u64 s[4:5], s[4:5], s[2:3]
	s_clause 0x7
	global_load_b32 v1, v0, s[6:7] scale_offset
	global_load_b32 v18, v0, s[6:7] offset:1024 scale_offset
	global_load_b32 v19, v0, s[6:7] offset:2048 scale_offset
	;; [unrolled: 1-line block ×3, first 2 shown]
	global_load_b128 v[14:17], v0, s[4:5] scale_offset
	global_load_b128 v[10:13], v0, s[4:5] offset:4096 scale_offset
	global_load_b128 v[6:9], v0, s[4:5] offset:8192 scale_offset
	;; [unrolled: 1-line block ×3, first 2 shown]
	s_wait_xcnt 0x0
	s_movk_i32 s4, 0x64
	s_wait_loadcnt 0x6
	v_dual_lshlrev_b32 v1, 4, v1 :: v_dual_lshlrev_b32 v18, 4, v18
	s_wait_loadcnt 0x4
	v_dual_lshlrev_b32 v19, 4, v19 :: v_dual_lshlrev_b32 v20, 4, v20
.LBB177_1:                              ; =>This Inner Loop Header: Depth=1
	s_wait_loadcnt 0x3
	ds_store_b128 v1, v[14:17]
	s_wait_loadcnt 0x2
	ds_store_b128 v18, v[10:13]
	;; [unrolled: 2-line block ×4, first 2 shown]
	s_wait_dscnt 0x0
	s_barrier_signal -1
	s_barrier_wait -1
	ds_load_b128 v[14:17], v21
	ds_load_b128 v[10:13], v21 offset:4096
	ds_load_b128 v[6:9], v21 offset:8192
	;; [unrolled: 1-line block ×3, first 2 shown]
	s_add_co_i32 s4, s4, -1
	s_wait_dscnt 0x0
	s_cmp_lg_u32 s4, 0
	s_barrier_signal -1
	s_barrier_wait -1
	s_cbranch_scc1 .LBB177_1
; %bb.2:
	s_add_nc_u64 s[0:1], s[0:1], s[2:3]
	s_clause 0x3
	global_store_b128 v0, v[14:17], s[0:1] scale_offset
	global_store_b128 v0, v[10:13], s[0:1] offset:4096 scale_offset
	global_store_b128 v0, v[6:9], s[0:1] offset:8192 scale_offset
	;; [unrolled: 1-line block ×3, first 2 shown]
	s_endpgm
	.section	.rodata,"a",@progbits
	.p2align	6, 0x0
	.amdhsa_kernel _Z6kernelI18scatter_to_stripedN15benchmark_utils11custom_typeIddEELj256ELj4ELj100EEvPKT0_PKjPS4_
		.amdhsa_group_segment_fixed_size 16896
		.amdhsa_private_segment_fixed_size 0
		.amdhsa_kernarg_size 24
		.amdhsa_user_sgpr_count 2
		.amdhsa_user_sgpr_dispatch_ptr 0
		.amdhsa_user_sgpr_queue_ptr 0
		.amdhsa_user_sgpr_kernarg_segment_ptr 1
		.amdhsa_user_sgpr_dispatch_id 0
		.amdhsa_user_sgpr_kernarg_preload_length 0
		.amdhsa_user_sgpr_kernarg_preload_offset 0
		.amdhsa_user_sgpr_private_segment_size 0
		.amdhsa_wavefront_size32 1
		.amdhsa_uses_dynamic_stack 0
		.amdhsa_enable_private_segment 0
		.amdhsa_system_sgpr_workgroup_id_x 1
		.amdhsa_system_sgpr_workgroup_id_y 0
		.amdhsa_system_sgpr_workgroup_id_z 0
		.amdhsa_system_sgpr_workgroup_info 0
		.amdhsa_system_vgpr_workitem_id 0
		.amdhsa_next_free_vgpr 22
		.amdhsa_next_free_sgpr 10
		.amdhsa_named_barrier_count 0
		.amdhsa_reserve_vcc 0
		.amdhsa_float_round_mode_32 0
		.amdhsa_float_round_mode_16_64 0
		.amdhsa_float_denorm_mode_32 3
		.amdhsa_float_denorm_mode_16_64 3
		.amdhsa_fp16_overflow 0
		.amdhsa_memory_ordered 1
		.amdhsa_forward_progress 1
		.amdhsa_inst_pref_size 4
		.amdhsa_round_robin_scheduling 0
		.amdhsa_exception_fp_ieee_invalid_op 0
		.amdhsa_exception_fp_denorm_src 0
		.amdhsa_exception_fp_ieee_div_zero 0
		.amdhsa_exception_fp_ieee_overflow 0
		.amdhsa_exception_fp_ieee_underflow 0
		.amdhsa_exception_fp_ieee_inexact 0
		.amdhsa_exception_int_div_zero 0
	.end_amdhsa_kernel
	.section	.text._Z6kernelI18scatter_to_stripedN15benchmark_utils11custom_typeIddEELj256ELj4ELj100EEvPKT0_PKjPS4_,"axG",@progbits,_Z6kernelI18scatter_to_stripedN15benchmark_utils11custom_typeIddEELj256ELj4ELj100EEvPKT0_PKjPS4_,comdat
.Lfunc_end177:
	.size	_Z6kernelI18scatter_to_stripedN15benchmark_utils11custom_typeIddEELj256ELj4ELj100EEvPKT0_PKjPS4_, .Lfunc_end177-_Z6kernelI18scatter_to_stripedN15benchmark_utils11custom_typeIddEELj256ELj4ELj100EEvPKT0_PKjPS4_
                                        ; -- End function
	.set _Z6kernelI18scatter_to_stripedN15benchmark_utils11custom_typeIddEELj256ELj4ELj100EEvPKT0_PKjPS4_.num_vgpr, 22
	.set _Z6kernelI18scatter_to_stripedN15benchmark_utils11custom_typeIddEELj256ELj4ELj100EEvPKT0_PKjPS4_.num_agpr, 0
	.set _Z6kernelI18scatter_to_stripedN15benchmark_utils11custom_typeIddEELj256ELj4ELj100EEvPKT0_PKjPS4_.numbered_sgpr, 10
	.set _Z6kernelI18scatter_to_stripedN15benchmark_utils11custom_typeIddEELj256ELj4ELj100EEvPKT0_PKjPS4_.num_named_barrier, 0
	.set _Z6kernelI18scatter_to_stripedN15benchmark_utils11custom_typeIddEELj256ELj4ELj100EEvPKT0_PKjPS4_.private_seg_size, 0
	.set _Z6kernelI18scatter_to_stripedN15benchmark_utils11custom_typeIddEELj256ELj4ELj100EEvPKT0_PKjPS4_.uses_vcc, 0
	.set _Z6kernelI18scatter_to_stripedN15benchmark_utils11custom_typeIddEELj256ELj4ELj100EEvPKT0_PKjPS4_.uses_flat_scratch, 0
	.set _Z6kernelI18scatter_to_stripedN15benchmark_utils11custom_typeIddEELj256ELj4ELj100EEvPKT0_PKjPS4_.has_dyn_sized_stack, 0
	.set _Z6kernelI18scatter_to_stripedN15benchmark_utils11custom_typeIddEELj256ELj4ELj100EEvPKT0_PKjPS4_.has_recursion, 0
	.set _Z6kernelI18scatter_to_stripedN15benchmark_utils11custom_typeIddEELj256ELj4ELj100EEvPKT0_PKjPS4_.has_indirect_call, 0
	.section	.AMDGPU.csdata,"",@progbits
; Kernel info:
; codeLenInByte = 408
; TotalNumSgprs: 10
; NumVgprs: 22
; ScratchSize: 0
; MemoryBound: 0
; FloatMode: 240
; IeeeMode: 1
; LDSByteSize: 16896 bytes/workgroup (compile time only)
; SGPRBlocks: 0
; VGPRBlocks: 1
; NumSGPRsForWavesPerEU: 10
; NumVGPRsForWavesPerEU: 22
; NamedBarCnt: 0
; Occupancy: 16
; WaveLimiterHint : 1
; COMPUTE_PGM_RSRC2:SCRATCH_EN: 0
; COMPUTE_PGM_RSRC2:USER_SGPR: 2
; COMPUTE_PGM_RSRC2:TRAP_HANDLER: 0
; COMPUTE_PGM_RSRC2:TGID_X_EN: 1
; COMPUTE_PGM_RSRC2:TGID_Y_EN: 0
; COMPUTE_PGM_RSRC2:TGID_Z_EN: 0
; COMPUTE_PGM_RSRC2:TIDIG_COMP_CNT: 0
	.section	.text._Z6kernelI18scatter_to_stripedN15benchmark_utils11custom_typeIddEELj256ELj7ELj100EEvPKT0_PKjPS4_,"axG",@progbits,_Z6kernelI18scatter_to_stripedN15benchmark_utils11custom_typeIddEELj256ELj7ELj100EEvPKT0_PKjPS4_,comdat
	.protected	_Z6kernelI18scatter_to_stripedN15benchmark_utils11custom_typeIddEELj256ELj7ELj100EEvPKT0_PKjPS4_ ; -- Begin function _Z6kernelI18scatter_to_stripedN15benchmark_utils11custom_typeIddEELj256ELj7ELj100EEvPKT0_PKjPS4_
	.globl	_Z6kernelI18scatter_to_stripedN15benchmark_utils11custom_typeIddEELj256ELj7ELj100EEvPKT0_PKjPS4_
	.p2align	8
	.type	_Z6kernelI18scatter_to_stripedN15benchmark_utils11custom_typeIddEELj256ELj7ELj100EEvPKT0_PKjPS4_,@function
_Z6kernelI18scatter_to_stripedN15benchmark_utils11custom_typeIddEELj256ELj7ELj100EEvPKT0_PKjPS4_: ; @_Z6kernelI18scatter_to_stripedN15benchmark_utils11custom_typeIddEELj256ELj7ELj100EEvPKT0_PKjPS4_
; %bb.0:
	s_load_b128 s[4:7], s[0:1], 0x0
	s_bfe_u32 s2, ttmp6, 0x4000c
	s_and_b32 s3, ttmp6, 15
	s_add_co_i32 s2, s2, 1
	s_getreg_b32 s8, hwreg(HW_REG_IB_STS2, 6, 4)
	s_mul_i32 s2, ttmp9, s2
	s_mov_b32 s9, 0
	s_add_co_i32 s3, s3, s2
	s_cmp_eq_u32 s8, 0
	s_wait_xcnt 0x0
	s_load_b64 s[0:1], s[0:1], 0x10
	s_cselect_b32 s2, ttmp9, s3
	v_lshlrev_b32_e32 v36, 4, v0
	s_mul_i32 s8, s2, 0x700
	s_delay_alu instid0(SALU_CYCLE_1)
	s_lshl_b64 s[2:3], s[8:9], 4
	s_lshl_b64 s[8:9], s[8:9], 2
	s_wait_kmcnt 0x0
	s_add_nc_u64 s[4:5], s[4:5], s[2:3]
	s_add_nc_u64 s[6:7], s[6:7], s[8:9]
	s_clause 0xd
	global_load_b128 v[2:5], v0, s[4:5] offset:24576 scale_offset
	global_load_b32 v1, v0, s[6:7] scale_offset
	global_load_b32 v30, v0, s[6:7] offset:1024 scale_offset
	global_load_b32 v31, v0, s[6:7] offset:2048 scale_offset
	;; [unrolled: 1-line block ×6, first 2 shown]
	global_load_b128 v[26:29], v0, s[4:5] scale_offset
	global_load_b128 v[22:25], v0, s[4:5] offset:4096 scale_offset
	global_load_b128 v[18:21], v0, s[4:5] offset:8192 scale_offset
	;; [unrolled: 1-line block ×5, first 2 shown]
	s_wait_xcnt 0x0
	s_movk_i32 s4, 0x64
	s_wait_loadcnt 0xb
	v_dual_lshlrev_b32 v1, 4, v1 :: v_dual_lshlrev_b32 v30, 4, v30
	s_wait_loadcnt 0x9
	v_dual_lshlrev_b32 v31, 4, v31 :: v_dual_lshlrev_b32 v32, 4, v32
	s_wait_loadcnt 0x7
	v_dual_lshlrev_b32 v33, 4, v33 :: v_dual_lshlrev_b32 v34, 4, v34
	s_wait_loadcnt 0x6
	v_lshlrev_b32_e32 v35, 4, v35
.LBB178_1:                              ; =>This Inner Loop Header: Depth=1
	s_wait_loadcnt 0x5
	ds_store_b128 v1, v[26:29]
	s_wait_loadcnt 0x4
	ds_store_b128 v30, v[22:25]
	;; [unrolled: 2-line block ×6, first 2 shown]
	ds_store_b128 v35, v[2:5]
	s_wait_dscnt 0x0
	s_barrier_signal -1
	s_barrier_wait -1
	ds_load_b128 v[26:29], v36
	ds_load_b128 v[22:25], v36 offset:4096
	ds_load_b128 v[18:21], v36 offset:8192
	;; [unrolled: 1-line block ×6, first 2 shown]
	s_add_co_i32 s4, s4, -1
	s_wait_dscnt 0x0
	s_cmp_lg_u32 s4, 0
	s_barrier_signal -1
	s_barrier_wait -1
	s_cbranch_scc1 .LBB178_1
; %bb.2:
	s_add_nc_u64 s[0:1], s[0:1], s[2:3]
	s_clause 0x6
	global_store_b128 v0, v[26:29], s[0:1] scale_offset
	global_store_b128 v0, v[22:25], s[0:1] offset:4096 scale_offset
	global_store_b128 v0, v[18:21], s[0:1] offset:8192 scale_offset
	;; [unrolled: 1-line block ×6, first 2 shown]
	s_endpgm
	.section	.rodata,"a",@progbits
	.p2align	6, 0x0
	.amdhsa_kernel _Z6kernelI18scatter_to_stripedN15benchmark_utils11custom_typeIddEELj256ELj7ELj100EEvPKT0_PKjPS4_
		.amdhsa_group_segment_fixed_size 28672
		.amdhsa_private_segment_fixed_size 0
		.amdhsa_kernarg_size 24
		.amdhsa_user_sgpr_count 2
		.amdhsa_user_sgpr_dispatch_ptr 0
		.amdhsa_user_sgpr_queue_ptr 0
		.amdhsa_user_sgpr_kernarg_segment_ptr 1
		.amdhsa_user_sgpr_dispatch_id 0
		.amdhsa_user_sgpr_kernarg_preload_length 0
		.amdhsa_user_sgpr_kernarg_preload_offset 0
		.amdhsa_user_sgpr_private_segment_size 0
		.amdhsa_wavefront_size32 1
		.amdhsa_uses_dynamic_stack 0
		.amdhsa_enable_private_segment 0
		.amdhsa_system_sgpr_workgroup_id_x 1
		.amdhsa_system_sgpr_workgroup_id_y 0
		.amdhsa_system_sgpr_workgroup_id_z 0
		.amdhsa_system_sgpr_workgroup_info 0
		.amdhsa_system_vgpr_workitem_id 0
		.amdhsa_next_free_vgpr 37
		.amdhsa_next_free_sgpr 10
		.amdhsa_named_barrier_count 0
		.amdhsa_reserve_vcc 0
		.amdhsa_float_round_mode_32 0
		.amdhsa_float_round_mode_16_64 0
		.amdhsa_float_denorm_mode_32 3
		.amdhsa_float_denorm_mode_16_64 3
		.amdhsa_fp16_overflow 0
		.amdhsa_memory_ordered 1
		.amdhsa_forward_progress 1
		.amdhsa_inst_pref_size 5
		.amdhsa_round_robin_scheduling 0
		.amdhsa_exception_fp_ieee_invalid_op 0
		.amdhsa_exception_fp_denorm_src 0
		.amdhsa_exception_fp_ieee_div_zero 0
		.amdhsa_exception_fp_ieee_overflow 0
		.amdhsa_exception_fp_ieee_underflow 0
		.amdhsa_exception_fp_ieee_inexact 0
		.amdhsa_exception_int_div_zero 0
	.end_amdhsa_kernel
	.section	.text._Z6kernelI18scatter_to_stripedN15benchmark_utils11custom_typeIddEELj256ELj7ELj100EEvPKT0_PKjPS4_,"axG",@progbits,_Z6kernelI18scatter_to_stripedN15benchmark_utils11custom_typeIddEELj256ELj7ELj100EEvPKT0_PKjPS4_,comdat
.Lfunc_end178:
	.size	_Z6kernelI18scatter_to_stripedN15benchmark_utils11custom_typeIddEELj256ELj7ELj100EEvPKT0_PKjPS4_, .Lfunc_end178-_Z6kernelI18scatter_to_stripedN15benchmark_utils11custom_typeIddEELj256ELj7ELj100EEvPKT0_PKjPS4_
                                        ; -- End function
	.set _Z6kernelI18scatter_to_stripedN15benchmark_utils11custom_typeIddEELj256ELj7ELj100EEvPKT0_PKjPS4_.num_vgpr, 37
	.set _Z6kernelI18scatter_to_stripedN15benchmark_utils11custom_typeIddEELj256ELj7ELj100EEvPKT0_PKjPS4_.num_agpr, 0
	.set _Z6kernelI18scatter_to_stripedN15benchmark_utils11custom_typeIddEELj256ELj7ELj100EEvPKT0_PKjPS4_.numbered_sgpr, 10
	.set _Z6kernelI18scatter_to_stripedN15benchmark_utils11custom_typeIddEELj256ELj7ELj100EEvPKT0_PKjPS4_.num_named_barrier, 0
	.set _Z6kernelI18scatter_to_stripedN15benchmark_utils11custom_typeIddEELj256ELj7ELj100EEvPKT0_PKjPS4_.private_seg_size, 0
	.set _Z6kernelI18scatter_to_stripedN15benchmark_utils11custom_typeIddEELj256ELj7ELj100EEvPKT0_PKjPS4_.uses_vcc, 0
	.set _Z6kernelI18scatter_to_stripedN15benchmark_utils11custom_typeIddEELj256ELj7ELj100EEvPKT0_PKjPS4_.uses_flat_scratch, 0
	.set _Z6kernelI18scatter_to_stripedN15benchmark_utils11custom_typeIddEELj256ELj7ELj100EEvPKT0_PKjPS4_.has_dyn_sized_stack, 0
	.set _Z6kernelI18scatter_to_stripedN15benchmark_utils11custom_typeIddEELj256ELj7ELj100EEvPKT0_PKjPS4_.has_recursion, 0
	.set _Z6kernelI18scatter_to_stripedN15benchmark_utils11custom_typeIddEELj256ELj7ELj100EEvPKT0_PKjPS4_.has_indirect_call, 0
	.section	.AMDGPU.csdata,"",@progbits
; Kernel info:
; codeLenInByte = 600
; TotalNumSgprs: 10
; NumVgprs: 37
; ScratchSize: 0
; MemoryBound: 1
; FloatMode: 240
; IeeeMode: 1
; LDSByteSize: 28672 bytes/workgroup (compile time only)
; SGPRBlocks: 0
; VGPRBlocks: 2
; NumSGPRsForWavesPerEU: 10
; NumVGPRsForWavesPerEU: 37
; NamedBarCnt: 0
; Occupancy: 16
; WaveLimiterHint : 1
; COMPUTE_PGM_RSRC2:SCRATCH_EN: 0
; COMPUTE_PGM_RSRC2:USER_SGPR: 2
; COMPUTE_PGM_RSRC2:TRAP_HANDLER: 0
; COMPUTE_PGM_RSRC2:TGID_X_EN: 1
; COMPUTE_PGM_RSRC2:TGID_Y_EN: 0
; COMPUTE_PGM_RSRC2:TGID_Z_EN: 0
; COMPUTE_PGM_RSRC2:TIDIG_COMP_CNT: 0
	.section	.text._Z6kernelI18scatter_to_stripedN15benchmark_utils11custom_typeIddEELj256ELj8ELj100EEvPKT0_PKjPS4_,"axG",@progbits,_Z6kernelI18scatter_to_stripedN15benchmark_utils11custom_typeIddEELj256ELj8ELj100EEvPKT0_PKjPS4_,comdat
	.protected	_Z6kernelI18scatter_to_stripedN15benchmark_utils11custom_typeIddEELj256ELj8ELj100EEvPKT0_PKjPS4_ ; -- Begin function _Z6kernelI18scatter_to_stripedN15benchmark_utils11custom_typeIddEELj256ELj8ELj100EEvPKT0_PKjPS4_
	.globl	_Z6kernelI18scatter_to_stripedN15benchmark_utils11custom_typeIddEELj256ELj8ELj100EEvPKT0_PKjPS4_
	.p2align	8
	.type	_Z6kernelI18scatter_to_stripedN15benchmark_utils11custom_typeIddEELj256ELj8ELj100EEvPKT0_PKjPS4_,@function
_Z6kernelI18scatter_to_stripedN15benchmark_utils11custom_typeIddEELj256ELj8ELj100EEvPKT0_PKjPS4_: ; @_Z6kernelI18scatter_to_stripedN15benchmark_utils11custom_typeIddEELj256ELj8ELj100EEvPKT0_PKjPS4_
; %bb.0:
	s_load_b128 s[4:7], s[0:1], 0x0
	s_bfe_u32 s2, ttmp6, 0x4000c
	s_and_b32 s3, ttmp6, 15
	s_add_co_i32 s2, s2, 1
	s_getreg_b32 s8, hwreg(HW_REG_IB_STS2, 6, 4)
	s_mul_i32 s2, ttmp9, s2
	s_mov_b32 s9, 0
	s_add_co_i32 s3, s3, s2
	s_cmp_eq_u32 s8, 0
	s_wait_xcnt 0x0
	s_load_b64 s[0:1], s[0:1], 0x10
	s_cselect_b32 s2, ttmp9, s3
	v_lshlrev_b32_e32 v41, 4, v0
	s_lshl_b32 s8, s2, 11
	s_delay_alu instid0(SALU_CYCLE_1)
	s_lshl_b64 s[2:3], s[8:9], 4
	s_lshl_b64 s[8:9], s[8:9], 2
	s_wait_kmcnt 0x0
	s_add_nc_u64 s[4:5], s[4:5], s[2:3]
	s_add_nc_u64 s[6:7], s[6:7], s[8:9]
	s_clause 0xf
	global_load_b128 v[22:25], v0, s[4:5] scale_offset
	global_load_b128 v[14:17], v0, s[4:5] offset:4096 scale_offset
	global_load_b32 v1, v0, s[6:7] scale_offset
	global_load_b32 v34, v0, s[6:7] offset:1024 scale_offset
	global_load_b32 v35, v0, s[6:7] offset:2048 scale_offset
	;; [unrolled: 1-line block ×7, first 2 shown]
	global_load_b128 v[30:33], v0, s[4:5] offset:8192 scale_offset
	global_load_b128 v[26:29], v0, s[4:5] offset:12288 scale_offset
	global_load_b128 v[18:21], v0, s[4:5] offset:16384 scale_offset
	global_load_b128 v[10:13], v0, s[4:5] offset:20480 scale_offset
	global_load_b128 v[6:9], v0, s[4:5] offset:24576 scale_offset
	; meta instruction
	global_load_b128 v[2:5], v0, s[4:5] offset:28672 scale_offset
	s_wait_xcnt 0x0
	s_movk_i32 s4, 0x64
	s_wait_loadcnt 0xc
	v_dual_lshlrev_b32 v1, 4, v1 :: v_dual_lshlrev_b32 v34, 4, v34
	s_wait_loadcnt 0xa
	v_dual_lshlrev_b32 v35, 4, v35 :: v_dual_lshlrev_b32 v36, 4, v36
	;; [unrolled: 2-line block ×4, first 2 shown]
.LBB179_1:                              ; =>This Inner Loop Header: Depth=1
	ds_store_b128 v1, v[22:25]
	ds_store_b128 v34, v[14:17]
	s_wait_loadcnt 0x5
	ds_store_b128 v35, v[30:33]
	s_wait_loadcnt 0x4
	;; [unrolled: 2-line block ×6, first 2 shown]
	ds_store_b128 v40, v[2:5]
	s_wait_dscnt 0x0
	s_barrier_signal -1
	s_barrier_wait -1
	ds_load_b128 v[22:25], v41
	ds_load_b128 v[14:17], v41 offset:4096
	ds_load_b128 v[30:33], v41 offset:8192
	;; [unrolled: 1-line block ×7, first 2 shown]
	s_add_co_i32 s4, s4, -1
	s_wait_dscnt 0x0
	s_cmp_lg_u32 s4, 0
	s_barrier_signal -1
	s_barrier_wait -1
	s_cbranch_scc1 .LBB179_1
; %bb.2:
	s_add_nc_u64 s[0:1], s[0:1], s[2:3]
	s_clause 0x7
	global_store_b128 v0, v[22:25], s[0:1] scale_offset
	global_store_b128 v0, v[14:17], s[0:1] offset:4096 scale_offset
	global_store_b128 v0, v[30:33], s[0:1] offset:8192 scale_offset
	;; [unrolled: 1-line block ×7, first 2 shown]
	s_endpgm
	.section	.rodata,"a",@progbits
	.p2align	6, 0x0
	.amdhsa_kernel _Z6kernelI18scatter_to_stripedN15benchmark_utils11custom_typeIddEELj256ELj8ELj100EEvPKT0_PKjPS4_
		.amdhsa_group_segment_fixed_size 33792
		.amdhsa_private_segment_fixed_size 0
		.amdhsa_kernarg_size 24
		.amdhsa_user_sgpr_count 2
		.amdhsa_user_sgpr_dispatch_ptr 0
		.amdhsa_user_sgpr_queue_ptr 0
		.amdhsa_user_sgpr_kernarg_segment_ptr 1
		.amdhsa_user_sgpr_dispatch_id 0
		.amdhsa_user_sgpr_kernarg_preload_length 0
		.amdhsa_user_sgpr_kernarg_preload_offset 0
		.amdhsa_user_sgpr_private_segment_size 0
		.amdhsa_wavefront_size32 1
		.amdhsa_uses_dynamic_stack 0
		.amdhsa_enable_private_segment 0
		.amdhsa_system_sgpr_workgroup_id_x 1
		.amdhsa_system_sgpr_workgroup_id_y 0
		.amdhsa_system_sgpr_workgroup_id_z 0
		.amdhsa_system_sgpr_workgroup_info 0
		.amdhsa_system_vgpr_workitem_id 0
		.amdhsa_next_free_vgpr 42
		.amdhsa_next_free_sgpr 10
		.amdhsa_named_barrier_count 0
		.amdhsa_reserve_vcc 0
		.amdhsa_float_round_mode_32 0
		.amdhsa_float_round_mode_16_64 0
		.amdhsa_float_denorm_mode_32 3
		.amdhsa_float_denorm_mode_16_64 3
		.amdhsa_fp16_overflow 0
		.amdhsa_memory_ordered 1
		.amdhsa_forward_progress 1
		.amdhsa_inst_pref_size 6
		.amdhsa_round_robin_scheduling 0
		.amdhsa_exception_fp_ieee_invalid_op 0
		.amdhsa_exception_fp_denorm_src 0
		.amdhsa_exception_fp_ieee_div_zero 0
		.amdhsa_exception_fp_ieee_overflow 0
		.amdhsa_exception_fp_ieee_underflow 0
		.amdhsa_exception_fp_ieee_inexact 0
		.amdhsa_exception_int_div_zero 0
	.end_amdhsa_kernel
	.section	.text._Z6kernelI18scatter_to_stripedN15benchmark_utils11custom_typeIddEELj256ELj8ELj100EEvPKT0_PKjPS4_,"axG",@progbits,_Z6kernelI18scatter_to_stripedN15benchmark_utils11custom_typeIddEELj256ELj8ELj100EEvPKT0_PKjPS4_,comdat
.Lfunc_end179:
	.size	_Z6kernelI18scatter_to_stripedN15benchmark_utils11custom_typeIddEELj256ELj8ELj100EEvPKT0_PKjPS4_, .Lfunc_end179-_Z6kernelI18scatter_to_stripedN15benchmark_utils11custom_typeIddEELj256ELj8ELj100EEvPKT0_PKjPS4_
                                        ; -- End function
	.set _Z6kernelI18scatter_to_stripedN15benchmark_utils11custom_typeIddEELj256ELj8ELj100EEvPKT0_PKjPS4_.num_vgpr, 42
	.set _Z6kernelI18scatter_to_stripedN15benchmark_utils11custom_typeIddEELj256ELj8ELj100EEvPKT0_PKjPS4_.num_agpr, 0
	.set _Z6kernelI18scatter_to_stripedN15benchmark_utils11custom_typeIddEELj256ELj8ELj100EEvPKT0_PKjPS4_.numbered_sgpr, 10
	.set _Z6kernelI18scatter_to_stripedN15benchmark_utils11custom_typeIddEELj256ELj8ELj100EEvPKT0_PKjPS4_.num_named_barrier, 0
	.set _Z6kernelI18scatter_to_stripedN15benchmark_utils11custom_typeIddEELj256ELj8ELj100EEvPKT0_PKjPS4_.private_seg_size, 0
	.set _Z6kernelI18scatter_to_stripedN15benchmark_utils11custom_typeIddEELj256ELj8ELj100EEvPKT0_PKjPS4_.uses_vcc, 0
	.set _Z6kernelI18scatter_to_stripedN15benchmark_utils11custom_typeIddEELj256ELj8ELj100EEvPKT0_PKjPS4_.uses_flat_scratch, 0
	.set _Z6kernelI18scatter_to_stripedN15benchmark_utils11custom_typeIddEELj256ELj8ELj100EEvPKT0_PKjPS4_.has_dyn_sized_stack, 0
	.set _Z6kernelI18scatter_to_stripedN15benchmark_utils11custom_typeIddEELj256ELj8ELj100EEvPKT0_PKjPS4_.has_recursion, 0
	.set _Z6kernelI18scatter_to_stripedN15benchmark_utils11custom_typeIddEELj256ELj8ELj100EEvPKT0_PKjPS4_.has_indirect_call, 0
	.section	.AMDGPU.csdata,"",@progbits
; Kernel info:
; codeLenInByte = 656
; TotalNumSgprs: 10
; NumVgprs: 42
; ScratchSize: 0
; MemoryBound: 1
; FloatMode: 240
; IeeeMode: 1
; LDSByteSize: 33792 bytes/workgroup (compile time only)
; SGPRBlocks: 0
; VGPRBlocks: 2
; NumSGPRsForWavesPerEU: 10
; NumVGPRsForWavesPerEU: 42
; NamedBarCnt: 0
; Occupancy: 16
; WaveLimiterHint : 1
; COMPUTE_PGM_RSRC2:SCRATCH_EN: 0
; COMPUTE_PGM_RSRC2:USER_SGPR: 2
; COMPUTE_PGM_RSRC2:TRAP_HANDLER: 0
; COMPUTE_PGM_RSRC2:TGID_X_EN: 1
; COMPUTE_PGM_RSRC2:TGID_Y_EN: 0
; COMPUTE_PGM_RSRC2:TGID_Z_EN: 0
; COMPUTE_PGM_RSRC2:TIDIG_COMP_CNT: 0
	.section	.AMDGPU.gpr_maximums,"",@progbits
	.set amdgpu.max_num_vgpr, 0
	.set amdgpu.max_num_agpr, 0
	.set amdgpu.max_num_sgpr, 0
	.section	.AMDGPU.csdata,"",@progbits
	.type	__hip_cuid_562e4ad99e61b92,@object ; @__hip_cuid_562e4ad99e61b92
	.section	.bss,"aw",@nobits
	.globl	__hip_cuid_562e4ad99e61b92
__hip_cuid_562e4ad99e61b92:
	.byte	0                               ; 0x0
	.size	__hip_cuid_562e4ad99e61b92, 1

	.ident	"AMD clang version 22.0.0git (https://github.com/RadeonOpenCompute/llvm-project roc-7.2.4 26084 f58b06dce1f9c15707c5f808fd002e18c2accf7e)"
	.section	".note.GNU-stack","",@progbits
	.addrsig
	.addrsig_sym __hip_cuid_562e4ad99e61b92
	.amdgpu_metadata
---
amdhsa.kernels:
  - .args:
      - .address_space:  global
        .offset:         0
        .size:           8
        .value_kind:     global_buffer
      - .address_space:  global
        .offset:         8
        .size:           8
        .value_kind:     global_buffer
      - .address_space:  global
        .offset:         16
        .size:           8
        .value_kind:     global_buffer
    .group_segment_fixed_size: 1024
    .kernarg_segment_align: 8
    .kernarg_segment_size: 24
    .language:       OpenCL C
    .language_version:
      - 2
      - 0
    .max_flat_workgroup_size: 256
    .name:           _Z6kernelI18blocked_to_stripediLj256ELj1ELj100EEvPKT0_PKjPS1_
    .private_segment_fixed_size: 0
    .sgpr_count:     7
    .sgpr_spill_count: 0
    .symbol:         _Z6kernelI18blocked_to_stripediLj256ELj1ELj100EEvPKT0_PKjPS1_.kd
    .uniform_work_group_size: 1
    .uses_dynamic_stack: false
    .vgpr_count:     3
    .vgpr_spill_count: 0
    .wavefront_size: 32
  - .args:
      - .address_space:  global
        .offset:         0
        .size:           8
        .value_kind:     global_buffer
      - .address_space:  global
        .offset:         8
        .size:           8
        .value_kind:     global_buffer
      - .address_space:  global
        .offset:         16
        .size:           8
        .value_kind:     global_buffer
    .group_segment_fixed_size: 2112
    .kernarg_segment_align: 8
    .kernarg_segment_size: 24
    .language:       OpenCL C
    .language_version:
      - 2
      - 0
    .max_flat_workgroup_size: 256
    .name:           _Z6kernelI18blocked_to_stripediLj256ELj2ELj100EEvPKT0_PKjPS1_
    .private_segment_fixed_size: 0
    .sgpr_count:     7
    .sgpr_spill_count: 0
    .symbol:         _Z6kernelI18blocked_to_stripediLj256ELj2ELj100EEvPKT0_PKjPS1_.kd
    .uniform_work_group_size: 1
    .uses_dynamic_stack: false
    .vgpr_count:     8
    .vgpr_spill_count: 0
    .wavefront_size: 32
  - .args:
      - .address_space:  global
        .offset:         0
        .size:           8
        .value_kind:     global_buffer
      - .address_space:  global
        .offset:         8
        .size:           8
        .value_kind:     global_buffer
      - .address_space:  global
        .offset:         16
        .size:           8
        .value_kind:     global_buffer
    .group_segment_fixed_size: 3072
    .kernarg_segment_align: 8
    .kernarg_segment_size: 24
    .language:       OpenCL C
    .language_version:
      - 2
      - 0
    .max_flat_workgroup_size: 256
    .name:           _Z6kernelI18blocked_to_stripediLj256ELj3ELj100EEvPKT0_PKjPS1_
    .private_segment_fixed_size: 0
    .sgpr_count:     7
    .sgpr_spill_count: 0
    .symbol:         _Z6kernelI18blocked_to_stripediLj256ELj3ELj100EEvPKT0_PKjPS1_.kd
    .uniform_work_group_size: 1
    .uses_dynamic_stack: false
    .vgpr_count:     6
    .vgpr_spill_count: 0
    .wavefront_size: 32
  - .args:
      - .address_space:  global
        .offset:         0
        .size:           8
        .value_kind:     global_buffer
      - .address_space:  global
        .offset:         8
        .size:           8
        .value_kind:     global_buffer
      - .address_space:  global
        .offset:         16
        .size:           8
        .value_kind:     global_buffer
    .group_segment_fixed_size: 4224
    .kernarg_segment_align: 8
    .kernarg_segment_size: 24
    .language:       OpenCL C
    .language_version:
      - 2
      - 0
    .max_flat_workgroup_size: 256
    .name:           _Z6kernelI18blocked_to_stripediLj256ELj4ELj100EEvPKT0_PKjPS1_
    .private_segment_fixed_size: 0
    .sgpr_count:     7
    .sgpr_spill_count: 0
    .symbol:         _Z6kernelI18blocked_to_stripediLj256ELj4ELj100EEvPKT0_PKjPS1_.kd
    .uniform_work_group_size: 1
    .uses_dynamic_stack: false
    .vgpr_count:     15
    .vgpr_spill_count: 0
    .wavefront_size: 32
  - .args:
      - .address_space:  global
        .offset:         0
        .size:           8
        .value_kind:     global_buffer
      - .address_space:  global
        .offset:         8
        .size:           8
        .value_kind:     global_buffer
      - .address_space:  global
        .offset:         16
        .size:           8
        .value_kind:     global_buffer
    .group_segment_fixed_size: 7168
    .kernarg_segment_align: 8
    .kernarg_segment_size: 24
    .language:       OpenCL C
    .language_version:
      - 2
      - 0
    .max_flat_workgroup_size: 256
    .name:           _Z6kernelI18blocked_to_stripediLj256ELj7ELj100EEvPKT0_PKjPS1_
    .private_segment_fixed_size: 0
    .sgpr_count:     7
    .sgpr_spill_count: 0
    .symbol:         _Z6kernelI18blocked_to_stripediLj256ELj7ELj100EEvPKT0_PKjPS1_.kd
    .uniform_work_group_size: 1
    .uses_dynamic_stack: false
    .vgpr_count:     10
    .vgpr_spill_count: 0
    .wavefront_size: 32
  - .args:
      - .address_space:  global
        .offset:         0
        .size:           8
        .value_kind:     global_buffer
      - .address_space:  global
        .offset:         8
        .size:           8
        .value_kind:     global_buffer
      - .address_space:  global
        .offset:         16
        .size:           8
        .value_kind:     global_buffer
    .group_segment_fixed_size: 8448
    .kernarg_segment_align: 8
    .kernarg_segment_size: 24
    .language:       OpenCL C
    .language_version:
      - 2
      - 0
    .max_flat_workgroup_size: 256
    .name:           _Z6kernelI18blocked_to_stripediLj256ELj8ELj100EEvPKT0_PKjPS1_
    .private_segment_fixed_size: 0
    .sgpr_count:     7
    .sgpr_spill_count: 0
    .symbol:         _Z6kernelI18blocked_to_stripediLj256ELj8ELj100EEvPKT0_PKjPS1_.kd
    .uniform_work_group_size: 1
    .uses_dynamic_stack: false
    .vgpr_count:     19
    .vgpr_spill_count: 0
    .wavefront_size: 32
  - .args:
      - .address_space:  global
        .offset:         0
        .size:           8
        .value_kind:     global_buffer
      - .address_space:  global
        .offset:         8
        .size:           8
        .value_kind:     global_buffer
      - .address_space:  global
        .offset:         16
        .size:           8
        .value_kind:     global_buffer
    .group_segment_fixed_size: 256
    .kernarg_segment_align: 8
    .kernarg_segment_size: 24
    .language:       OpenCL C
    .language_version:
      - 2
      - 0
    .max_flat_workgroup_size: 256
    .name:           _Z6kernelI18blocked_to_stripedaLj256ELj1ELj100EEvPKT0_PKjPS1_
    .private_segment_fixed_size: 0
    .sgpr_count:     7
    .sgpr_spill_count: 0
    .symbol:         _Z6kernelI18blocked_to_stripedaLj256ELj1ELj100EEvPKT0_PKjPS1_.kd
    .uniform_work_group_size: 1
    .uses_dynamic_stack: false
    .vgpr_count:     3
    .vgpr_spill_count: 0
    .wavefront_size: 32
  - .args:
      - .address_space:  global
        .offset:         0
        .size:           8
        .value_kind:     global_buffer
      - .address_space:  global
        .offset:         8
        .size:           8
        .value_kind:     global_buffer
      - .address_space:  global
        .offset:         16
        .size:           8
        .value_kind:     global_buffer
    .group_segment_fixed_size: 528
    .kernarg_segment_align: 8
    .kernarg_segment_size: 24
    .language:       OpenCL C
    .language_version:
      - 2
      - 0
    .max_flat_workgroup_size: 256
    .name:           _Z6kernelI18blocked_to_stripedaLj256ELj2ELj100EEvPKT0_PKjPS1_
    .private_segment_fixed_size: 0
    .sgpr_count:     7
    .sgpr_spill_count: 0
    .symbol:         _Z6kernelI18blocked_to_stripedaLj256ELj2ELj100EEvPKT0_PKjPS1_.kd
    .uniform_work_group_size: 1
    .uses_dynamic_stack: false
    .vgpr_count:     7
    .vgpr_spill_count: 0
    .wavefront_size: 32
  - .args:
      - .address_space:  global
        .offset:         0
        .size:           8
        .value_kind:     global_buffer
      - .address_space:  global
        .offset:         8
        .size:           8
        .value_kind:     global_buffer
      - .address_space:  global
        .offset:         16
        .size:           8
        .value_kind:     global_buffer
    .group_segment_fixed_size: 768
    .kernarg_segment_align: 8
    .kernarg_segment_size: 24
    .language:       OpenCL C
    .language_version:
      - 2
      - 0
    .max_flat_workgroup_size: 256
    .name:           _Z6kernelI18blocked_to_stripedaLj256ELj3ELj100EEvPKT0_PKjPS1_
    .private_segment_fixed_size: 0
    .sgpr_count:     7
    .sgpr_spill_count: 0
    .symbol:         _Z6kernelI18blocked_to_stripedaLj256ELj3ELj100EEvPKT0_PKjPS1_.kd
    .uniform_work_group_size: 1
    .uses_dynamic_stack: false
    .vgpr_count:     7
    .vgpr_spill_count: 0
    .wavefront_size: 32
  - .args:
      - .address_space:  global
        .offset:         0
        .size:           8
        .value_kind:     global_buffer
      - .address_space:  global
        .offset:         8
        .size:           8
        .value_kind:     global_buffer
      - .address_space:  global
        .offset:         16
        .size:           8
        .value_kind:     global_buffer
    .group_segment_fixed_size: 1056
    .kernarg_segment_align: 8
    .kernarg_segment_size: 24
    .language:       OpenCL C
    .language_version:
      - 2
      - 0
    .max_flat_workgroup_size: 256
    .name:           _Z6kernelI18blocked_to_stripedaLj256ELj4ELj100EEvPKT0_PKjPS1_
    .private_segment_fixed_size: 0
    .sgpr_count:     7
    .sgpr_spill_count: 0
    .symbol:         _Z6kernelI18blocked_to_stripedaLj256ELj4ELj100EEvPKT0_PKjPS1_.kd
    .uniform_work_group_size: 1
    .uses_dynamic_stack: false
    .vgpr_count:     12
    .vgpr_spill_count: 0
    .wavefront_size: 32
  - .args:
      - .address_space:  global
        .offset:         0
        .size:           8
        .value_kind:     global_buffer
      - .address_space:  global
        .offset:         8
        .size:           8
        .value_kind:     global_buffer
      - .address_space:  global
        .offset:         16
        .size:           8
        .value_kind:     global_buffer
    .group_segment_fixed_size: 1792
    .kernarg_segment_align: 8
    .kernarg_segment_size: 24
    .language:       OpenCL C
    .language_version:
      - 2
      - 0
    .max_flat_workgroup_size: 256
    .name:           _Z6kernelI18blocked_to_stripedaLj256ELj7ELj100EEvPKT0_PKjPS1_
    .private_segment_fixed_size: 0
    .sgpr_count:     7
    .sgpr_spill_count: 0
    .symbol:         _Z6kernelI18blocked_to_stripedaLj256ELj7ELj100EEvPKT0_PKjPS1_.kd
    .uniform_work_group_size: 1
    .uses_dynamic_stack: false
    .vgpr_count:     11
    .vgpr_spill_count: 0
    .wavefront_size: 32
  - .args:
      - .address_space:  global
        .offset:         0
        .size:           8
        .value_kind:     global_buffer
      - .address_space:  global
        .offset:         8
        .size:           8
        .value_kind:     global_buffer
      - .address_space:  global
        .offset:         16
        .size:           8
        .value_kind:     global_buffer
    .group_segment_fixed_size: 2112
    .kernarg_segment_align: 8
    .kernarg_segment_size: 24
    .language:       OpenCL C
    .language_version:
      - 2
      - 0
    .max_flat_workgroup_size: 256
    .name:           _Z6kernelI18blocked_to_stripedaLj256ELj8ELj100EEvPKT0_PKjPS1_
    .private_segment_fixed_size: 0
    .sgpr_count:     7
    .sgpr_spill_count: 0
    .symbol:         _Z6kernelI18blocked_to_stripedaLj256ELj8ELj100EEvPKT0_PKjPS1_.kd
    .uniform_work_group_size: 1
    .uses_dynamic_stack: false
    .vgpr_count:     22
    .vgpr_spill_count: 0
    .wavefront_size: 32
  - .args:
      - .address_space:  global
        .offset:         0
        .size:           8
        .value_kind:     global_buffer
      - .address_space:  global
        .offset:         8
        .size:           8
        .value_kind:     global_buffer
      - .address_space:  global
        .offset:         16
        .size:           8
        .value_kind:     global_buffer
    .group_segment_fixed_size: 2048
    .kernarg_segment_align: 8
    .kernarg_segment_size: 24
    .language:       OpenCL C
    .language_version:
      - 2
      - 0
    .max_flat_workgroup_size: 256
    .name:           _Z6kernelI18blocked_to_stripedxLj256ELj1ELj100EEvPKT0_PKjPS1_
    .private_segment_fixed_size: 0
    .sgpr_count:     7
    .sgpr_spill_count: 0
    .symbol:         _Z6kernelI18blocked_to_stripedxLj256ELj1ELj100EEvPKT0_PKjPS1_.kd
    .uniform_work_group_size: 1
    .uses_dynamic_stack: false
    .vgpr_count:     4
    .vgpr_spill_count: 0
    .wavefront_size: 32
  - .args:
      - .address_space:  global
        .offset:         0
        .size:           8
        .value_kind:     global_buffer
      - .address_space:  global
        .offset:         8
        .size:           8
        .value_kind:     global_buffer
      - .address_space:  global
        .offset:         16
        .size:           8
        .value_kind:     global_buffer
    .group_segment_fixed_size: 4224
    .kernarg_segment_align: 8
    .kernarg_segment_size: 24
    .language:       OpenCL C
    .language_version:
      - 2
      - 0
    .max_flat_workgroup_size: 256
    .name:           _Z6kernelI18blocked_to_stripedxLj256ELj2ELj100EEvPKT0_PKjPS1_
    .private_segment_fixed_size: 0
    .sgpr_count:     7
    .sgpr_spill_count: 0
    .symbol:         _Z6kernelI18blocked_to_stripedxLj256ELj2ELj100EEvPKT0_PKjPS1_.kd
    .uniform_work_group_size: 1
    .uses_dynamic_stack: false
    .vgpr_count:     10
    .vgpr_spill_count: 0
    .wavefront_size: 32
  - .args:
      - .address_space:  global
        .offset:         0
        .size:           8
        .value_kind:     global_buffer
      - .address_space:  global
        .offset:         8
        .size:           8
        .value_kind:     global_buffer
      - .address_space:  global
        .offset:         16
        .size:           8
        .value_kind:     global_buffer
    .group_segment_fixed_size: 6144
    .kernarg_segment_align: 8
    .kernarg_segment_size: 24
    .language:       OpenCL C
    .language_version:
      - 2
      - 0
    .max_flat_workgroup_size: 256
    .name:           _Z6kernelI18blocked_to_stripedxLj256ELj3ELj100EEvPKT0_PKjPS1_
    .private_segment_fixed_size: 0
    .sgpr_count:     7
    .sgpr_spill_count: 0
    .symbol:         _Z6kernelI18blocked_to_stripedxLj256ELj3ELj100EEvPKT0_PKjPS1_.kd
    .uniform_work_group_size: 1
    .uses_dynamic_stack: false
    .vgpr_count:     9
    .vgpr_spill_count: 0
    .wavefront_size: 32
  - .args:
      - .address_space:  global
        .offset:         0
        .size:           8
        .value_kind:     global_buffer
      - .address_space:  global
        .offset:         8
        .size:           8
        .value_kind:     global_buffer
      - .address_space:  global
        .offset:         16
        .size:           8
        .value_kind:     global_buffer
    .group_segment_fixed_size: 8448
    .kernarg_segment_align: 8
    .kernarg_segment_size: 24
    .language:       OpenCL C
    .language_version:
      - 2
      - 0
    .max_flat_workgroup_size: 256
    .name:           _Z6kernelI18blocked_to_stripedxLj256ELj4ELj100EEvPKT0_PKjPS1_
    .private_segment_fixed_size: 0
    .sgpr_count:     7
    .sgpr_spill_count: 0
    .symbol:         _Z6kernelI18blocked_to_stripedxLj256ELj4ELj100EEvPKT0_PKjPS1_.kd
    .uniform_work_group_size: 1
    .uses_dynamic_stack: false
    .vgpr_count:     19
    .vgpr_spill_count: 0
    .wavefront_size: 32
  - .args:
      - .address_space:  global
        .offset:         0
        .size:           8
        .value_kind:     global_buffer
      - .address_space:  global
        .offset:         8
        .size:           8
        .value_kind:     global_buffer
      - .address_space:  global
        .offset:         16
        .size:           8
        .value_kind:     global_buffer
    .group_segment_fixed_size: 14336
    .kernarg_segment_align: 8
    .kernarg_segment_size: 24
    .language:       OpenCL C
    .language_version:
      - 2
      - 0
    .max_flat_workgroup_size: 256
    .name:           _Z6kernelI18blocked_to_stripedxLj256ELj7ELj100EEvPKT0_PKjPS1_
    .private_segment_fixed_size: 0
    .sgpr_count:     7
    .sgpr_spill_count: 0
    .symbol:         _Z6kernelI18blocked_to_stripedxLj256ELj7ELj100EEvPKT0_PKjPS1_.kd
    .uniform_work_group_size: 1
    .uses_dynamic_stack: false
    .vgpr_count:     17
    .vgpr_spill_count: 0
    .wavefront_size: 32
  - .args:
      - .address_space:  global
        .offset:         0
        .size:           8
        .value_kind:     global_buffer
      - .address_space:  global
        .offset:         8
        .size:           8
        .value_kind:     global_buffer
      - .address_space:  global
        .offset:         16
        .size:           8
        .value_kind:     global_buffer
    .group_segment_fixed_size: 16896
    .kernarg_segment_align: 8
    .kernarg_segment_size: 24
    .language:       OpenCL C
    .language_version:
      - 2
      - 0
    .max_flat_workgroup_size: 256
    .name:           _Z6kernelI18blocked_to_stripedxLj256ELj8ELj100EEvPKT0_PKjPS1_
    .private_segment_fixed_size: 0
    .sgpr_count:     7
    .sgpr_spill_count: 0
    .symbol:         _Z6kernelI18blocked_to_stripedxLj256ELj8ELj100EEvPKT0_PKjPS1_.kd
    .uniform_work_group_size: 1
    .uses_dynamic_stack: false
    .vgpr_count:     27
    .vgpr_spill_count: 0
    .wavefront_size: 32
  - .args:
      - .address_space:  global
        .offset:         0
        .size:           8
        .value_kind:     global_buffer
      - .address_space:  global
        .offset:         8
        .size:           8
        .value_kind:     global_buffer
      - .address_space:  global
        .offset:         16
        .size:           8
        .value_kind:     global_buffer
    .group_segment_fixed_size: 2048
    .kernarg_segment_align: 8
    .kernarg_segment_size: 24
    .language:       OpenCL C
    .language_version:
      - 2
      - 0
    .max_flat_workgroup_size: 256
    .name:           _Z6kernelI18blocked_to_stripedN15benchmark_utils11custom_typeIffEELj256ELj1ELj100EEvPKT0_PKjPS4_
    .private_segment_fixed_size: 0
    .sgpr_count:     7
    .sgpr_spill_count: 0
    .symbol:         _Z6kernelI18blocked_to_stripedN15benchmark_utils11custom_typeIffEELj256ELj1ELj100EEvPKT0_PKjPS4_.kd
    .uniform_work_group_size: 1
    .uses_dynamic_stack: false
    .vgpr_count:     4
    .vgpr_spill_count: 0
    .wavefront_size: 32
  - .args:
      - .address_space:  global
        .offset:         0
        .size:           8
        .value_kind:     global_buffer
      - .address_space:  global
        .offset:         8
        .size:           8
        .value_kind:     global_buffer
      - .address_space:  global
        .offset:         16
        .size:           8
        .value_kind:     global_buffer
    .group_segment_fixed_size: 4224
    .kernarg_segment_align: 8
    .kernarg_segment_size: 24
    .language:       OpenCL C
    .language_version:
      - 2
      - 0
    .max_flat_workgroup_size: 256
    .name:           _Z6kernelI18blocked_to_stripedN15benchmark_utils11custom_typeIffEELj256ELj2ELj100EEvPKT0_PKjPS4_
    .private_segment_fixed_size: 0
    .sgpr_count:     7
    .sgpr_spill_count: 0
    .symbol:         _Z6kernelI18blocked_to_stripedN15benchmark_utils11custom_typeIffEELj256ELj2ELj100EEvPKT0_PKjPS4_.kd
    .uniform_work_group_size: 1
    .uses_dynamic_stack: false
    .vgpr_count:     10
    .vgpr_spill_count: 0
    .wavefront_size: 32
  - .args:
      - .address_space:  global
        .offset:         0
        .size:           8
        .value_kind:     global_buffer
      - .address_space:  global
        .offset:         8
        .size:           8
        .value_kind:     global_buffer
      - .address_space:  global
        .offset:         16
        .size:           8
        .value_kind:     global_buffer
    .group_segment_fixed_size: 6144
    .kernarg_segment_align: 8
    .kernarg_segment_size: 24
    .language:       OpenCL C
    .language_version:
      - 2
      - 0
    .max_flat_workgroup_size: 256
    .name:           _Z6kernelI18blocked_to_stripedN15benchmark_utils11custom_typeIffEELj256ELj3ELj100EEvPKT0_PKjPS4_
    .private_segment_fixed_size: 0
    .sgpr_count:     7
    .sgpr_spill_count: 0
    .symbol:         _Z6kernelI18blocked_to_stripedN15benchmark_utils11custom_typeIffEELj256ELj3ELj100EEvPKT0_PKjPS4_.kd
    .uniform_work_group_size: 1
    .uses_dynamic_stack: false
    .vgpr_count:     9
    .vgpr_spill_count: 0
    .wavefront_size: 32
  - .args:
      - .address_space:  global
        .offset:         0
        .size:           8
        .value_kind:     global_buffer
      - .address_space:  global
        .offset:         8
        .size:           8
        .value_kind:     global_buffer
      - .address_space:  global
        .offset:         16
        .size:           8
        .value_kind:     global_buffer
    .group_segment_fixed_size: 8448
    .kernarg_segment_align: 8
    .kernarg_segment_size: 24
    .language:       OpenCL C
    .language_version:
      - 2
      - 0
    .max_flat_workgroup_size: 256
    .name:           _Z6kernelI18blocked_to_stripedN15benchmark_utils11custom_typeIffEELj256ELj4ELj100EEvPKT0_PKjPS4_
    .private_segment_fixed_size: 0
    .sgpr_count:     7
    .sgpr_spill_count: 0
    .symbol:         _Z6kernelI18blocked_to_stripedN15benchmark_utils11custom_typeIffEELj256ELj4ELj100EEvPKT0_PKjPS4_.kd
    .uniform_work_group_size: 1
    .uses_dynamic_stack: false
    .vgpr_count:     19
    .vgpr_spill_count: 0
    .wavefront_size: 32
  - .args:
      - .address_space:  global
        .offset:         0
        .size:           8
        .value_kind:     global_buffer
      - .address_space:  global
        .offset:         8
        .size:           8
        .value_kind:     global_buffer
      - .address_space:  global
        .offset:         16
        .size:           8
        .value_kind:     global_buffer
    .group_segment_fixed_size: 14336
    .kernarg_segment_align: 8
    .kernarg_segment_size: 24
    .language:       OpenCL C
    .language_version:
      - 2
      - 0
    .max_flat_workgroup_size: 256
    .name:           _Z6kernelI18blocked_to_stripedN15benchmark_utils11custom_typeIffEELj256ELj7ELj100EEvPKT0_PKjPS4_
    .private_segment_fixed_size: 0
    .sgpr_count:     7
    .sgpr_spill_count: 0
    .symbol:         _Z6kernelI18blocked_to_stripedN15benchmark_utils11custom_typeIffEELj256ELj7ELj100EEvPKT0_PKjPS4_.kd
    .uniform_work_group_size: 1
    .uses_dynamic_stack: false
    .vgpr_count:     17
    .vgpr_spill_count: 0
    .wavefront_size: 32
  - .args:
      - .address_space:  global
        .offset:         0
        .size:           8
        .value_kind:     global_buffer
      - .address_space:  global
        .offset:         8
        .size:           8
        .value_kind:     global_buffer
      - .address_space:  global
        .offset:         16
        .size:           8
        .value_kind:     global_buffer
    .group_segment_fixed_size: 16896
    .kernarg_segment_align: 8
    .kernarg_segment_size: 24
    .language:       OpenCL C
    .language_version:
      - 2
      - 0
    .max_flat_workgroup_size: 256
    .name:           _Z6kernelI18blocked_to_stripedN15benchmark_utils11custom_typeIffEELj256ELj8ELj100EEvPKT0_PKjPS4_
    .private_segment_fixed_size: 0
    .sgpr_count:     7
    .sgpr_spill_count: 0
    .symbol:         _Z6kernelI18blocked_to_stripedN15benchmark_utils11custom_typeIffEELj256ELj8ELj100EEvPKT0_PKjPS4_.kd
    .uniform_work_group_size: 1
    .uses_dynamic_stack: false
    .vgpr_count:     27
    .vgpr_spill_count: 0
    .wavefront_size: 32
  - .args:
      - .address_space:  global
        .offset:         0
        .size:           8
        .value_kind:     global_buffer
      - .address_space:  global
        .offset:         8
        .size:           8
        .value_kind:     global_buffer
      - .address_space:  global
        .offset:         16
        .size:           8
        .value_kind:     global_buffer
    .group_segment_fixed_size: 4096
    .kernarg_segment_align: 8
    .kernarg_segment_size: 24
    .language:       OpenCL C
    .language_version:
      - 2
      - 0
    .max_flat_workgroup_size: 256
    .name:           _Z6kernelI18blocked_to_stripedN15benchmark_utils11custom_typeIddEELj256ELj1ELj100EEvPKT0_PKjPS4_
    .private_segment_fixed_size: 0
    .sgpr_count:     7
    .sgpr_spill_count: 0
    .symbol:         _Z6kernelI18blocked_to_stripedN15benchmark_utils11custom_typeIddEELj256ELj1ELj100EEvPKT0_PKjPS4_.kd
    .uniform_work_group_size: 1
    .uses_dynamic_stack: false
    .vgpr_count:     6
    .vgpr_spill_count: 0
    .wavefront_size: 32
  - .args:
      - .address_space:  global
        .offset:         0
        .size:           8
        .value_kind:     global_buffer
      - .address_space:  global
        .offset:         8
        .size:           8
        .value_kind:     global_buffer
      - .address_space:  global
        .offset:         16
        .size:           8
        .value_kind:     global_buffer
    .group_segment_fixed_size: 8448
    .kernarg_segment_align: 8
    .kernarg_segment_size: 24
    .language:       OpenCL C
    .language_version:
      - 2
      - 0
    .max_flat_workgroup_size: 256
    .name:           _Z6kernelI18blocked_to_stripedN15benchmark_utils11custom_typeIddEELj256ELj2ELj100EEvPKT0_PKjPS4_
    .private_segment_fixed_size: 0
    .sgpr_count:     7
    .sgpr_spill_count: 0
    .symbol:         _Z6kernelI18blocked_to_stripedN15benchmark_utils11custom_typeIddEELj256ELj2ELj100EEvPKT0_PKjPS4_.kd
    .uniform_work_group_size: 1
    .uses_dynamic_stack: false
    .vgpr_count:     15
    .vgpr_spill_count: 0
    .wavefront_size: 32
  - .args:
      - .address_space:  global
        .offset:         0
        .size:           8
        .value_kind:     global_buffer
      - .address_space:  global
        .offset:         8
        .size:           8
        .value_kind:     global_buffer
      - .address_space:  global
        .offset:         16
        .size:           8
        .value_kind:     global_buffer
    .group_segment_fixed_size: 12288
    .kernarg_segment_align: 8
    .kernarg_segment_size: 24
    .language:       OpenCL C
    .language_version:
      - 2
      - 0
    .max_flat_workgroup_size: 256
    .name:           _Z6kernelI18blocked_to_stripedN15benchmark_utils11custom_typeIddEELj256ELj3ELj100EEvPKT0_PKjPS4_
    .private_segment_fixed_size: 0
    .sgpr_count:     7
    .sgpr_spill_count: 0
    .symbol:         _Z6kernelI18blocked_to_stripedN15benchmark_utils11custom_typeIddEELj256ELj3ELj100EEvPKT0_PKjPS4_.kd
    .uniform_work_group_size: 1
    .uses_dynamic_stack: false
    .vgpr_count:     15
    .vgpr_spill_count: 0
    .wavefront_size: 32
  - .args:
      - .address_space:  global
        .offset:         0
        .size:           8
        .value_kind:     global_buffer
      - .address_space:  global
        .offset:         8
        .size:           8
        .value_kind:     global_buffer
      - .address_space:  global
        .offset:         16
        .size:           8
        .value_kind:     global_buffer
    .group_segment_fixed_size: 16896
    .kernarg_segment_align: 8
    .kernarg_segment_size: 24
    .language:       OpenCL C
    .language_version:
      - 2
      - 0
    .max_flat_workgroup_size: 256
    .name:           _Z6kernelI18blocked_to_stripedN15benchmark_utils11custom_typeIddEELj256ELj4ELj100EEvPKT0_PKjPS4_
    .private_segment_fixed_size: 0
    .sgpr_count:     7
    .sgpr_spill_count: 0
    .symbol:         _Z6kernelI18blocked_to_stripedN15benchmark_utils11custom_typeIddEELj256ELj4ELj100EEvPKT0_PKjPS4_.kd
    .uniform_work_group_size: 1
    .uses_dynamic_stack: false
    .vgpr_count:     24
    .vgpr_spill_count: 0
    .wavefront_size: 32
  - .args:
      - .address_space:  global
        .offset:         0
        .size:           8
        .value_kind:     global_buffer
      - .address_space:  global
        .offset:         8
        .size:           8
        .value_kind:     global_buffer
      - .address_space:  global
        .offset:         16
        .size:           8
        .value_kind:     global_buffer
    .group_segment_fixed_size: 28672
    .kernarg_segment_align: 8
    .kernarg_segment_size: 24
    .language:       OpenCL C
    .language_version:
      - 2
      - 0
    .max_flat_workgroup_size: 256
    .name:           _Z6kernelI18blocked_to_stripedN15benchmark_utils11custom_typeIddEELj256ELj7ELj100EEvPKT0_PKjPS4_
    .private_segment_fixed_size: 0
    .sgpr_count:     7
    .sgpr_spill_count: 0
    .symbol:         _Z6kernelI18blocked_to_stripedN15benchmark_utils11custom_typeIddEELj256ELj7ELj100EEvPKT0_PKjPS4_.kd
    .uniform_work_group_size: 1
    .uses_dynamic_stack: false
    .vgpr_count:     31
    .vgpr_spill_count: 0
    .wavefront_size: 32
  - .args:
      - .address_space:  global
        .offset:         0
        .size:           8
        .value_kind:     global_buffer
      - .address_space:  global
        .offset:         8
        .size:           8
        .value_kind:     global_buffer
      - .address_space:  global
        .offset:         16
        .size:           8
        .value_kind:     global_buffer
    .group_segment_fixed_size: 33792
    .kernarg_segment_align: 8
    .kernarg_segment_size: 24
    .language:       OpenCL C
    .language_version:
      - 2
      - 0
    .max_flat_workgroup_size: 256
    .name:           _Z6kernelI18blocked_to_stripedN15benchmark_utils11custom_typeIddEELj256ELj8ELj100EEvPKT0_PKjPS4_
    .private_segment_fixed_size: 0
    .sgpr_count:     7
    .sgpr_spill_count: 0
    .symbol:         _Z6kernelI18blocked_to_stripedN15benchmark_utils11custom_typeIddEELj256ELj8ELj100EEvPKT0_PKjPS4_.kd
    .uniform_work_group_size: 1
    .uses_dynamic_stack: false
    .vgpr_count:     43
    .vgpr_spill_count: 0
    .wavefront_size: 32
  - .args:
      - .address_space:  global
        .offset:         0
        .size:           8
        .value_kind:     global_buffer
      - .address_space:  global
        .offset:         8
        .size:           8
        .value_kind:     global_buffer
      - .address_space:  global
        .offset:         16
        .size:           8
        .value_kind:     global_buffer
    .group_segment_fixed_size: 1024
    .kernarg_segment_align: 8
    .kernarg_segment_size: 24
    .language:       OpenCL C
    .language_version:
      - 2
      - 0
    .max_flat_workgroup_size: 256
    .name:           _Z6kernelI18striped_to_blockediLj256ELj1ELj100EEvPKT0_PKjPS1_
    .private_segment_fixed_size: 0
    .sgpr_count:     7
    .sgpr_spill_count: 0
    .symbol:         _Z6kernelI18striped_to_blockediLj256ELj1ELj100EEvPKT0_PKjPS1_.kd
    .uniform_work_group_size: 1
    .uses_dynamic_stack: false
    .vgpr_count:     3
    .vgpr_spill_count: 0
    .wavefront_size: 32
  - .args:
      - .address_space:  global
        .offset:         0
        .size:           8
        .value_kind:     global_buffer
      - .address_space:  global
        .offset:         8
        .size:           8
        .value_kind:     global_buffer
      - .address_space:  global
        .offset:         16
        .size:           8
        .value_kind:     global_buffer
    .group_segment_fixed_size: 2112
    .kernarg_segment_align: 8
    .kernarg_segment_size: 24
    .language:       OpenCL C
    .language_version:
      - 2
      - 0
    .max_flat_workgroup_size: 256
    .name:           _Z6kernelI18striped_to_blockediLj256ELj2ELj100EEvPKT0_PKjPS1_
    .private_segment_fixed_size: 0
    .sgpr_count:     7
    .sgpr_spill_count: 0
    .symbol:         _Z6kernelI18striped_to_blockediLj256ELj2ELj100EEvPKT0_PKjPS1_.kd
    .uniform_work_group_size: 1
    .uses_dynamic_stack: false
    .vgpr_count:     8
    .vgpr_spill_count: 0
    .wavefront_size: 32
  - .args:
      - .address_space:  global
        .offset:         0
        .size:           8
        .value_kind:     global_buffer
      - .address_space:  global
        .offset:         8
        .size:           8
        .value_kind:     global_buffer
      - .address_space:  global
        .offset:         16
        .size:           8
        .value_kind:     global_buffer
    .group_segment_fixed_size: 3072
    .kernarg_segment_align: 8
    .kernarg_segment_size: 24
    .language:       OpenCL C
    .language_version:
      - 2
      - 0
    .max_flat_workgroup_size: 256
    .name:           _Z6kernelI18striped_to_blockediLj256ELj3ELj100EEvPKT0_PKjPS1_
    .private_segment_fixed_size: 0
    .sgpr_count:     7
    .sgpr_spill_count: 0
    .symbol:         _Z6kernelI18striped_to_blockediLj256ELj3ELj100EEvPKT0_PKjPS1_.kd
    .uniform_work_group_size: 1
    .uses_dynamic_stack: false
    .vgpr_count:     6
    .vgpr_spill_count: 0
    .wavefront_size: 32
  - .args:
      - .address_space:  global
        .offset:         0
        .size:           8
        .value_kind:     global_buffer
      - .address_space:  global
        .offset:         8
        .size:           8
        .value_kind:     global_buffer
      - .address_space:  global
        .offset:         16
        .size:           8
        .value_kind:     global_buffer
    .group_segment_fixed_size: 4224
    .kernarg_segment_align: 8
    .kernarg_segment_size: 24
    .language:       OpenCL C
    .language_version:
      - 2
      - 0
    .max_flat_workgroup_size: 256
    .name:           _Z6kernelI18striped_to_blockediLj256ELj4ELj100EEvPKT0_PKjPS1_
    .private_segment_fixed_size: 0
    .sgpr_count:     7
    .sgpr_spill_count: 0
    .symbol:         _Z6kernelI18striped_to_blockediLj256ELj4ELj100EEvPKT0_PKjPS1_.kd
    .uniform_work_group_size: 1
    .uses_dynamic_stack: false
    .vgpr_count:     14
    .vgpr_spill_count: 0
    .wavefront_size: 32
  - .args:
      - .address_space:  global
        .offset:         0
        .size:           8
        .value_kind:     global_buffer
      - .address_space:  global
        .offset:         8
        .size:           8
        .value_kind:     global_buffer
      - .address_space:  global
        .offset:         16
        .size:           8
        .value_kind:     global_buffer
    .group_segment_fixed_size: 7168
    .kernarg_segment_align: 8
    .kernarg_segment_size: 24
    .language:       OpenCL C
    .language_version:
      - 2
      - 0
    .max_flat_workgroup_size: 256
    .name:           _Z6kernelI18striped_to_blockediLj256ELj7ELj100EEvPKT0_PKjPS1_
    .private_segment_fixed_size: 0
    .sgpr_count:     7
    .sgpr_spill_count: 0
    .symbol:         _Z6kernelI18striped_to_blockediLj256ELj7ELj100EEvPKT0_PKjPS1_.kd
    .uniform_work_group_size: 1
    .uses_dynamic_stack: false
    .vgpr_count:     10
    .vgpr_spill_count: 0
    .wavefront_size: 32
  - .args:
      - .address_space:  global
        .offset:         0
        .size:           8
        .value_kind:     global_buffer
      - .address_space:  global
        .offset:         8
        .size:           8
        .value_kind:     global_buffer
      - .address_space:  global
        .offset:         16
        .size:           8
        .value_kind:     global_buffer
    .group_segment_fixed_size: 8448
    .kernarg_segment_align: 8
    .kernarg_segment_size: 24
    .language:       OpenCL C
    .language_version:
      - 2
      - 0
    .max_flat_workgroup_size: 256
    .name:           _Z6kernelI18striped_to_blockediLj256ELj8ELj100EEvPKT0_PKjPS1_
    .private_segment_fixed_size: 0
    .sgpr_count:     7
    .sgpr_spill_count: 0
    .symbol:         _Z6kernelI18striped_to_blockediLj256ELj8ELj100EEvPKT0_PKjPS1_.kd
    .uniform_work_group_size: 1
    .uses_dynamic_stack: false
    .vgpr_count:     19
    .vgpr_spill_count: 0
    .wavefront_size: 32
  - .args:
      - .address_space:  global
        .offset:         0
        .size:           8
        .value_kind:     global_buffer
      - .address_space:  global
        .offset:         8
        .size:           8
        .value_kind:     global_buffer
      - .address_space:  global
        .offset:         16
        .size:           8
        .value_kind:     global_buffer
    .group_segment_fixed_size: 256
    .kernarg_segment_align: 8
    .kernarg_segment_size: 24
    .language:       OpenCL C
    .language_version:
      - 2
      - 0
    .max_flat_workgroup_size: 256
    .name:           _Z6kernelI18striped_to_blockedaLj256ELj1ELj100EEvPKT0_PKjPS1_
    .private_segment_fixed_size: 0
    .sgpr_count:     7
    .sgpr_spill_count: 0
    .symbol:         _Z6kernelI18striped_to_blockedaLj256ELj1ELj100EEvPKT0_PKjPS1_.kd
    .uniform_work_group_size: 1
    .uses_dynamic_stack: false
    .vgpr_count:     3
    .vgpr_spill_count: 0
    .wavefront_size: 32
  - .args:
      - .address_space:  global
        .offset:         0
        .size:           8
        .value_kind:     global_buffer
      - .address_space:  global
        .offset:         8
        .size:           8
        .value_kind:     global_buffer
      - .address_space:  global
        .offset:         16
        .size:           8
        .value_kind:     global_buffer
    .group_segment_fixed_size: 528
    .kernarg_segment_align: 8
    .kernarg_segment_size: 24
    .language:       OpenCL C
    .language_version:
      - 2
      - 0
    .max_flat_workgroup_size: 256
    .name:           _Z6kernelI18striped_to_blockedaLj256ELj2ELj100EEvPKT0_PKjPS1_
    .private_segment_fixed_size: 0
    .sgpr_count:     7
    .sgpr_spill_count: 0
    .symbol:         _Z6kernelI18striped_to_blockedaLj256ELj2ELj100EEvPKT0_PKjPS1_.kd
    .uniform_work_group_size: 1
    .uses_dynamic_stack: false
    .vgpr_count:     7
    .vgpr_spill_count: 0
    .wavefront_size: 32
  - .args:
      - .address_space:  global
        .offset:         0
        .size:           8
        .value_kind:     global_buffer
      - .address_space:  global
        .offset:         8
        .size:           8
        .value_kind:     global_buffer
      - .address_space:  global
        .offset:         16
        .size:           8
        .value_kind:     global_buffer
    .group_segment_fixed_size: 768
    .kernarg_segment_align: 8
    .kernarg_segment_size: 24
    .language:       OpenCL C
    .language_version:
      - 2
      - 0
    .max_flat_workgroup_size: 256
    .name:           _Z6kernelI18striped_to_blockedaLj256ELj3ELj100EEvPKT0_PKjPS1_
    .private_segment_fixed_size: 0
    .sgpr_count:     7
    .sgpr_spill_count: 0
    .symbol:         _Z6kernelI18striped_to_blockedaLj256ELj3ELj100EEvPKT0_PKjPS1_.kd
    .uniform_work_group_size: 1
    .uses_dynamic_stack: false
    .vgpr_count:     7
    .vgpr_spill_count: 0
    .wavefront_size: 32
  - .args:
      - .address_space:  global
        .offset:         0
        .size:           8
        .value_kind:     global_buffer
      - .address_space:  global
        .offset:         8
        .size:           8
        .value_kind:     global_buffer
      - .address_space:  global
        .offset:         16
        .size:           8
        .value_kind:     global_buffer
    .group_segment_fixed_size: 1056
    .kernarg_segment_align: 8
    .kernarg_segment_size: 24
    .language:       OpenCL C
    .language_version:
      - 2
      - 0
    .max_flat_workgroup_size: 256
    .name:           _Z6kernelI18striped_to_blockedaLj256ELj4ELj100EEvPKT0_PKjPS1_
    .private_segment_fixed_size: 0
    .sgpr_count:     7
    .sgpr_spill_count: 0
    .symbol:         _Z6kernelI18striped_to_blockedaLj256ELj4ELj100EEvPKT0_PKjPS1_.kd
    .uniform_work_group_size: 1
    .uses_dynamic_stack: false
    .vgpr_count:     12
    .vgpr_spill_count: 0
    .wavefront_size: 32
  - .args:
      - .address_space:  global
        .offset:         0
        .size:           8
        .value_kind:     global_buffer
      - .address_space:  global
        .offset:         8
        .size:           8
        .value_kind:     global_buffer
      - .address_space:  global
        .offset:         16
        .size:           8
        .value_kind:     global_buffer
    .group_segment_fixed_size: 1792
    .kernarg_segment_align: 8
    .kernarg_segment_size: 24
    .language:       OpenCL C
    .language_version:
      - 2
      - 0
    .max_flat_workgroup_size: 256
    .name:           _Z6kernelI18striped_to_blockedaLj256ELj7ELj100EEvPKT0_PKjPS1_
    .private_segment_fixed_size: 0
    .sgpr_count:     7
    .sgpr_spill_count: 0
    .symbol:         _Z6kernelI18striped_to_blockedaLj256ELj7ELj100EEvPKT0_PKjPS1_.kd
    .uniform_work_group_size: 1
    .uses_dynamic_stack: false
    .vgpr_count:     8
    .vgpr_spill_count: 0
    .wavefront_size: 32
  - .args:
      - .address_space:  global
        .offset:         0
        .size:           8
        .value_kind:     global_buffer
      - .address_space:  global
        .offset:         8
        .size:           8
        .value_kind:     global_buffer
      - .address_space:  global
        .offset:         16
        .size:           8
        .value_kind:     global_buffer
    .group_segment_fixed_size: 2112
    .kernarg_segment_align: 8
    .kernarg_segment_size: 24
    .language:       OpenCL C
    .language_version:
      - 2
      - 0
    .max_flat_workgroup_size: 256
    .name:           _Z6kernelI18striped_to_blockedaLj256ELj8ELj100EEvPKT0_PKjPS1_
    .private_segment_fixed_size: 0
    .sgpr_count:     7
    .sgpr_spill_count: 0
    .symbol:         _Z6kernelI18striped_to_blockedaLj256ELj8ELj100EEvPKT0_PKjPS1_.kd
    .uniform_work_group_size: 1
    .uses_dynamic_stack: false
    .vgpr_count:     19
    .vgpr_spill_count: 0
    .wavefront_size: 32
  - .args:
      - .address_space:  global
        .offset:         0
        .size:           8
        .value_kind:     global_buffer
      - .address_space:  global
        .offset:         8
        .size:           8
        .value_kind:     global_buffer
      - .address_space:  global
        .offset:         16
        .size:           8
        .value_kind:     global_buffer
    .group_segment_fixed_size: 2048
    .kernarg_segment_align: 8
    .kernarg_segment_size: 24
    .language:       OpenCL C
    .language_version:
      - 2
      - 0
    .max_flat_workgroup_size: 256
    .name:           _Z6kernelI18striped_to_blockedxLj256ELj1ELj100EEvPKT0_PKjPS1_
    .private_segment_fixed_size: 0
    .sgpr_count:     7
    .sgpr_spill_count: 0
    .symbol:         _Z6kernelI18striped_to_blockedxLj256ELj1ELj100EEvPKT0_PKjPS1_.kd
    .uniform_work_group_size: 1
    .uses_dynamic_stack: false
    .vgpr_count:     4
    .vgpr_spill_count: 0
    .wavefront_size: 32
  - .args:
      - .address_space:  global
        .offset:         0
        .size:           8
        .value_kind:     global_buffer
      - .address_space:  global
        .offset:         8
        .size:           8
        .value_kind:     global_buffer
      - .address_space:  global
        .offset:         16
        .size:           8
        .value_kind:     global_buffer
    .group_segment_fixed_size: 4224
    .kernarg_segment_align: 8
    .kernarg_segment_size: 24
    .language:       OpenCL C
    .language_version:
      - 2
      - 0
    .max_flat_workgroup_size: 256
    .name:           _Z6kernelI18striped_to_blockedxLj256ELj2ELj100EEvPKT0_PKjPS1_
    .private_segment_fixed_size: 0
    .sgpr_count:     7
    .sgpr_spill_count: 0
    .symbol:         _Z6kernelI18striped_to_blockedxLj256ELj2ELj100EEvPKT0_PKjPS1_.kd
    .uniform_work_group_size: 1
    .uses_dynamic_stack: false
    .vgpr_count:     10
    .vgpr_spill_count: 0
    .wavefront_size: 32
  - .args:
      - .address_space:  global
        .offset:         0
        .size:           8
        .value_kind:     global_buffer
      - .address_space:  global
        .offset:         8
        .size:           8
        .value_kind:     global_buffer
      - .address_space:  global
        .offset:         16
        .size:           8
        .value_kind:     global_buffer
    .group_segment_fixed_size: 6144
    .kernarg_segment_align: 8
    .kernarg_segment_size: 24
    .language:       OpenCL C
    .language_version:
      - 2
      - 0
    .max_flat_workgroup_size: 256
    .name:           _Z6kernelI18striped_to_blockedxLj256ELj3ELj100EEvPKT0_PKjPS1_
    .private_segment_fixed_size: 0
    .sgpr_count:     7
    .sgpr_spill_count: 0
    .symbol:         _Z6kernelI18striped_to_blockedxLj256ELj3ELj100EEvPKT0_PKjPS1_.kd
    .uniform_work_group_size: 1
    .uses_dynamic_stack: false
    .vgpr_count:     9
    .vgpr_spill_count: 0
    .wavefront_size: 32
  - .args:
      - .address_space:  global
        .offset:         0
        .size:           8
        .value_kind:     global_buffer
      - .address_space:  global
        .offset:         8
        .size:           8
        .value_kind:     global_buffer
      - .address_space:  global
        .offset:         16
        .size:           8
        .value_kind:     global_buffer
    .group_segment_fixed_size: 8448
    .kernarg_segment_align: 8
    .kernarg_segment_size: 24
    .language:       OpenCL C
    .language_version:
      - 2
      - 0
    .max_flat_workgroup_size: 256
    .name:           _Z6kernelI18striped_to_blockedxLj256ELj4ELj100EEvPKT0_PKjPS1_
    .private_segment_fixed_size: 0
    .sgpr_count:     7
    .sgpr_spill_count: 0
    .symbol:         _Z6kernelI18striped_to_blockedxLj256ELj4ELj100EEvPKT0_PKjPS1_.kd
    .uniform_work_group_size: 1
    .uses_dynamic_stack: false
    .vgpr_count:     17
    .vgpr_spill_count: 0
    .wavefront_size: 32
  - .args:
      - .address_space:  global
        .offset:         0
        .size:           8
        .value_kind:     global_buffer
      - .address_space:  global
        .offset:         8
        .size:           8
        .value_kind:     global_buffer
      - .address_space:  global
        .offset:         16
        .size:           8
        .value_kind:     global_buffer
    .group_segment_fixed_size: 14336
    .kernarg_segment_align: 8
    .kernarg_segment_size: 24
    .language:       OpenCL C
    .language_version:
      - 2
      - 0
    .max_flat_workgroup_size: 256
    .name:           _Z6kernelI18striped_to_blockedxLj256ELj7ELj100EEvPKT0_PKjPS1_
    .private_segment_fixed_size: 0
    .sgpr_count:     7
    .sgpr_spill_count: 0
    .symbol:         _Z6kernelI18striped_to_blockedxLj256ELj7ELj100EEvPKT0_PKjPS1_.kd
    .uniform_work_group_size: 1
    .uses_dynamic_stack: false
    .vgpr_count:     17
    .vgpr_spill_count: 0
    .wavefront_size: 32
  - .args:
      - .address_space:  global
        .offset:         0
        .size:           8
        .value_kind:     global_buffer
      - .address_space:  global
        .offset:         8
        .size:           8
        .value_kind:     global_buffer
      - .address_space:  global
        .offset:         16
        .size:           8
        .value_kind:     global_buffer
    .group_segment_fixed_size: 16896
    .kernarg_segment_align: 8
    .kernarg_segment_size: 24
    .language:       OpenCL C
    .language_version:
      - 2
      - 0
    .max_flat_workgroup_size: 256
    .name:           _Z6kernelI18striped_to_blockedxLj256ELj8ELj100EEvPKT0_PKjPS1_
    .private_segment_fixed_size: 0
    .sgpr_count:     7
    .sgpr_spill_count: 0
    .symbol:         _Z6kernelI18striped_to_blockedxLj256ELj8ELj100EEvPKT0_PKjPS1_.kd
    .uniform_work_group_size: 1
    .uses_dynamic_stack: false
    .vgpr_count:     27
    .vgpr_spill_count: 0
    .wavefront_size: 32
  - .args:
      - .address_space:  global
        .offset:         0
        .size:           8
        .value_kind:     global_buffer
      - .address_space:  global
        .offset:         8
        .size:           8
        .value_kind:     global_buffer
      - .address_space:  global
        .offset:         16
        .size:           8
        .value_kind:     global_buffer
    .group_segment_fixed_size: 2048
    .kernarg_segment_align: 8
    .kernarg_segment_size: 24
    .language:       OpenCL C
    .language_version:
      - 2
      - 0
    .max_flat_workgroup_size: 256
    .name:           _Z6kernelI18striped_to_blockedN15benchmark_utils11custom_typeIffEELj256ELj1ELj100EEvPKT0_PKjPS4_
    .private_segment_fixed_size: 0
    .sgpr_count:     7
    .sgpr_spill_count: 0
    .symbol:         _Z6kernelI18striped_to_blockedN15benchmark_utils11custom_typeIffEELj256ELj1ELj100EEvPKT0_PKjPS4_.kd
    .uniform_work_group_size: 1
    .uses_dynamic_stack: false
    .vgpr_count:     4
    .vgpr_spill_count: 0
    .wavefront_size: 32
  - .args:
      - .address_space:  global
        .offset:         0
        .size:           8
        .value_kind:     global_buffer
      - .address_space:  global
        .offset:         8
        .size:           8
        .value_kind:     global_buffer
      - .address_space:  global
        .offset:         16
        .size:           8
        .value_kind:     global_buffer
    .group_segment_fixed_size: 4224
    .kernarg_segment_align: 8
    .kernarg_segment_size: 24
    .language:       OpenCL C
    .language_version:
      - 2
      - 0
    .max_flat_workgroup_size: 256
    .name:           _Z6kernelI18striped_to_blockedN15benchmark_utils11custom_typeIffEELj256ELj2ELj100EEvPKT0_PKjPS4_
    .private_segment_fixed_size: 0
    .sgpr_count:     7
    .sgpr_spill_count: 0
    .symbol:         _Z6kernelI18striped_to_blockedN15benchmark_utils11custom_typeIffEELj256ELj2ELj100EEvPKT0_PKjPS4_.kd
    .uniform_work_group_size: 1
    .uses_dynamic_stack: false
    .vgpr_count:     10
    .vgpr_spill_count: 0
    .wavefront_size: 32
  - .args:
      - .address_space:  global
        .offset:         0
        .size:           8
        .value_kind:     global_buffer
      - .address_space:  global
        .offset:         8
        .size:           8
        .value_kind:     global_buffer
      - .address_space:  global
        .offset:         16
        .size:           8
        .value_kind:     global_buffer
    .group_segment_fixed_size: 6144
    .kernarg_segment_align: 8
    .kernarg_segment_size: 24
    .language:       OpenCL C
    .language_version:
      - 2
      - 0
    .max_flat_workgroup_size: 256
    .name:           _Z6kernelI18striped_to_blockedN15benchmark_utils11custom_typeIffEELj256ELj3ELj100EEvPKT0_PKjPS4_
    .private_segment_fixed_size: 0
    .sgpr_count:     7
    .sgpr_spill_count: 0
    .symbol:         _Z6kernelI18striped_to_blockedN15benchmark_utils11custom_typeIffEELj256ELj3ELj100EEvPKT0_PKjPS4_.kd
    .uniform_work_group_size: 1
    .uses_dynamic_stack: false
    .vgpr_count:     9
    .vgpr_spill_count: 0
    .wavefront_size: 32
  - .args:
      - .address_space:  global
        .offset:         0
        .size:           8
        .value_kind:     global_buffer
      - .address_space:  global
        .offset:         8
        .size:           8
        .value_kind:     global_buffer
      - .address_space:  global
        .offset:         16
        .size:           8
        .value_kind:     global_buffer
    .group_segment_fixed_size: 8448
    .kernarg_segment_align: 8
    .kernarg_segment_size: 24
    .language:       OpenCL C
    .language_version:
      - 2
      - 0
    .max_flat_workgroup_size: 256
    .name:           _Z6kernelI18striped_to_blockedN15benchmark_utils11custom_typeIffEELj256ELj4ELj100EEvPKT0_PKjPS4_
    .private_segment_fixed_size: 0
    .sgpr_count:     7
    .sgpr_spill_count: 0
    .symbol:         _Z6kernelI18striped_to_blockedN15benchmark_utils11custom_typeIffEELj256ELj4ELj100EEvPKT0_PKjPS4_.kd
    .uniform_work_group_size: 1
    .uses_dynamic_stack: false
    .vgpr_count:     17
    .vgpr_spill_count: 0
    .wavefront_size: 32
  - .args:
      - .address_space:  global
        .offset:         0
        .size:           8
        .value_kind:     global_buffer
      - .address_space:  global
        .offset:         8
        .size:           8
        .value_kind:     global_buffer
      - .address_space:  global
        .offset:         16
        .size:           8
        .value_kind:     global_buffer
    .group_segment_fixed_size: 14336
    .kernarg_segment_align: 8
    .kernarg_segment_size: 24
    .language:       OpenCL C
    .language_version:
      - 2
      - 0
    .max_flat_workgroup_size: 256
    .name:           _Z6kernelI18striped_to_blockedN15benchmark_utils11custom_typeIffEELj256ELj7ELj100EEvPKT0_PKjPS4_
    .private_segment_fixed_size: 0
    .sgpr_count:     7
    .sgpr_spill_count: 0
    .symbol:         _Z6kernelI18striped_to_blockedN15benchmark_utils11custom_typeIffEELj256ELj7ELj100EEvPKT0_PKjPS4_.kd
    .uniform_work_group_size: 1
    .uses_dynamic_stack: false
    .vgpr_count:     17
    .vgpr_spill_count: 0
    .wavefront_size: 32
  - .args:
      - .address_space:  global
        .offset:         0
        .size:           8
        .value_kind:     global_buffer
      - .address_space:  global
        .offset:         8
        .size:           8
        .value_kind:     global_buffer
      - .address_space:  global
        .offset:         16
        .size:           8
        .value_kind:     global_buffer
    .group_segment_fixed_size: 16896
    .kernarg_segment_align: 8
    .kernarg_segment_size: 24
    .language:       OpenCL C
    .language_version:
      - 2
      - 0
    .max_flat_workgroup_size: 256
    .name:           _Z6kernelI18striped_to_blockedN15benchmark_utils11custom_typeIffEELj256ELj8ELj100EEvPKT0_PKjPS4_
    .private_segment_fixed_size: 0
    .sgpr_count:     7
    .sgpr_spill_count: 0
    .symbol:         _Z6kernelI18striped_to_blockedN15benchmark_utils11custom_typeIffEELj256ELj8ELj100EEvPKT0_PKjPS4_.kd
    .uniform_work_group_size: 1
    .uses_dynamic_stack: false
    .vgpr_count:     27
    .vgpr_spill_count: 0
    .wavefront_size: 32
  - .args:
      - .address_space:  global
        .offset:         0
        .size:           8
        .value_kind:     global_buffer
      - .address_space:  global
        .offset:         8
        .size:           8
        .value_kind:     global_buffer
      - .address_space:  global
        .offset:         16
        .size:           8
        .value_kind:     global_buffer
    .group_segment_fixed_size: 4096
    .kernarg_segment_align: 8
    .kernarg_segment_size: 24
    .language:       OpenCL C
    .language_version:
      - 2
      - 0
    .max_flat_workgroup_size: 256
    .name:           _Z6kernelI18striped_to_blockedN15benchmark_utils11custom_typeIddEELj256ELj1ELj100EEvPKT0_PKjPS4_
    .private_segment_fixed_size: 0
    .sgpr_count:     7
    .sgpr_spill_count: 0
    .symbol:         _Z6kernelI18striped_to_blockedN15benchmark_utils11custom_typeIddEELj256ELj1ELj100EEvPKT0_PKjPS4_.kd
    .uniform_work_group_size: 1
    .uses_dynamic_stack: false
    .vgpr_count:     6
    .vgpr_spill_count: 0
    .wavefront_size: 32
  - .args:
      - .address_space:  global
        .offset:         0
        .size:           8
        .value_kind:     global_buffer
      - .address_space:  global
        .offset:         8
        .size:           8
        .value_kind:     global_buffer
      - .address_space:  global
        .offset:         16
        .size:           8
        .value_kind:     global_buffer
    .group_segment_fixed_size: 8448
    .kernarg_segment_align: 8
    .kernarg_segment_size: 24
    .language:       OpenCL C
    .language_version:
      - 2
      - 0
    .max_flat_workgroup_size: 256
    .name:           _Z6kernelI18striped_to_blockedN15benchmark_utils11custom_typeIddEELj256ELj2ELj100EEvPKT0_PKjPS4_
    .private_segment_fixed_size: 0
    .sgpr_count:     7
    .sgpr_spill_count: 0
    .symbol:         _Z6kernelI18striped_to_blockedN15benchmark_utils11custom_typeIddEELj256ELj2ELj100EEvPKT0_PKjPS4_.kd
    .uniform_work_group_size: 1
    .uses_dynamic_stack: false
    .vgpr_count:     13
    .vgpr_spill_count: 0
    .wavefront_size: 32
  - .args:
      - .address_space:  global
        .offset:         0
        .size:           8
        .value_kind:     global_buffer
      - .address_space:  global
        .offset:         8
        .size:           8
        .value_kind:     global_buffer
      - .address_space:  global
        .offset:         16
        .size:           8
        .value_kind:     global_buffer
    .group_segment_fixed_size: 12288
    .kernarg_segment_align: 8
    .kernarg_segment_size: 24
    .language:       OpenCL C
    .language_version:
      - 2
      - 0
    .max_flat_workgroup_size: 256
    .name:           _Z6kernelI18striped_to_blockedN15benchmark_utils11custom_typeIddEELj256ELj3ELj100EEvPKT0_PKjPS4_
    .private_segment_fixed_size: 0
    .sgpr_count:     7
    .sgpr_spill_count: 0
    .symbol:         _Z6kernelI18striped_to_blockedN15benchmark_utils11custom_typeIddEELj256ELj3ELj100EEvPKT0_PKjPS4_.kd
    .uniform_work_group_size: 1
    .uses_dynamic_stack: false
    .vgpr_count:     15
    .vgpr_spill_count: 0
    .wavefront_size: 32
  - .args:
      - .address_space:  global
        .offset:         0
        .size:           8
        .value_kind:     global_buffer
      - .address_space:  global
        .offset:         8
        .size:           8
        .value_kind:     global_buffer
      - .address_space:  global
        .offset:         16
        .size:           8
        .value_kind:     global_buffer
    .group_segment_fixed_size: 16896
    .kernarg_segment_align: 8
    .kernarg_segment_size: 24
    .language:       OpenCL C
    .language_version:
      - 2
      - 0
    .max_flat_workgroup_size: 256
    .name:           _Z6kernelI18striped_to_blockedN15benchmark_utils11custom_typeIddEELj256ELj4ELj100EEvPKT0_PKjPS4_
    .private_segment_fixed_size: 0
    .sgpr_count:     7
    .sgpr_spill_count: 0
    .symbol:         _Z6kernelI18striped_to_blockedN15benchmark_utils11custom_typeIddEELj256ELj4ELj100EEvPKT0_PKjPS4_.kd
    .uniform_work_group_size: 1
    .uses_dynamic_stack: false
    .vgpr_count:     26
    .vgpr_spill_count: 0
    .wavefront_size: 32
  - .args:
      - .address_space:  global
        .offset:         0
        .size:           8
        .value_kind:     global_buffer
      - .address_space:  global
        .offset:         8
        .size:           8
        .value_kind:     global_buffer
      - .address_space:  global
        .offset:         16
        .size:           8
        .value_kind:     global_buffer
    .group_segment_fixed_size: 28672
    .kernarg_segment_align: 8
    .kernarg_segment_size: 24
    .language:       OpenCL C
    .language_version:
      - 2
      - 0
    .max_flat_workgroup_size: 256
    .name:           _Z6kernelI18striped_to_blockedN15benchmark_utils11custom_typeIddEELj256ELj7ELj100EEvPKT0_PKjPS4_
    .private_segment_fixed_size: 0
    .sgpr_count:     7
    .sgpr_spill_count: 0
    .symbol:         _Z6kernelI18striped_to_blockedN15benchmark_utils11custom_typeIddEELj256ELj7ELj100EEvPKT0_PKjPS4_.kd
    .uniform_work_group_size: 1
    .uses_dynamic_stack: false
    .vgpr_count:     31
    .vgpr_spill_count: 0
    .wavefront_size: 32
  - .args:
      - .address_space:  global
        .offset:         0
        .size:           8
        .value_kind:     global_buffer
      - .address_space:  global
        .offset:         8
        .size:           8
        .value_kind:     global_buffer
      - .address_space:  global
        .offset:         16
        .size:           8
        .value_kind:     global_buffer
    .group_segment_fixed_size: 33792
    .kernarg_segment_align: 8
    .kernarg_segment_size: 24
    .language:       OpenCL C
    .language_version:
      - 2
      - 0
    .max_flat_workgroup_size: 256
    .name:           _Z6kernelI18striped_to_blockedN15benchmark_utils11custom_typeIddEELj256ELj8ELj100EEvPKT0_PKjPS4_
    .private_segment_fixed_size: 0
    .sgpr_count:     7
    .sgpr_spill_count: 0
    .symbol:         _Z6kernelI18striped_to_blockedN15benchmark_utils11custom_typeIddEELj256ELj8ELj100EEvPKT0_PKjPS4_.kd
    .uniform_work_group_size: 1
    .uses_dynamic_stack: false
    .vgpr_count:     46
    .vgpr_spill_count: 0
    .wavefront_size: 32
  - .args:
      - .address_space:  global
        .offset:         0
        .size:           8
        .value_kind:     global_buffer
      - .address_space:  global
        .offset:         8
        .size:           8
        .value_kind:     global_buffer
      - .address_space:  global
        .offset:         16
        .size:           8
        .value_kind:     global_buffer
    .group_segment_fixed_size: 1024
    .kernarg_segment_align: 8
    .kernarg_segment_size: 24
    .language:       OpenCL C
    .language_version:
      - 2
      - 0
    .max_flat_workgroup_size: 256
    .name:           _Z6kernelI23blocked_to_warp_stripediLj256ELj1ELj100EEvPKT0_PKjPS1_
    .private_segment_fixed_size: 0
    .sgpr_count:     7
    .sgpr_spill_count: 0
    .symbol:         _Z6kernelI23blocked_to_warp_stripediLj256ELj1ELj100EEvPKT0_PKjPS1_.kd
    .uniform_work_group_size: 1
    .uses_dynamic_stack: false
    .vgpr_count:     6
    .vgpr_spill_count: 0
    .wavefront_size: 32
  - .args:
      - .address_space:  global
        .offset:         0
        .size:           8
        .value_kind:     global_buffer
      - .address_space:  global
        .offset:         8
        .size:           8
        .value_kind:     global_buffer
      - .address_space:  global
        .offset:         16
        .size:           8
        .value_kind:     global_buffer
    .group_segment_fixed_size: 2112
    .kernarg_segment_align: 8
    .kernarg_segment_size: 24
    .language:       OpenCL C
    .language_version:
      - 2
      - 0
    .max_flat_workgroup_size: 256
    .name:           _Z6kernelI23blocked_to_warp_stripediLj256ELj2ELj100EEvPKT0_PKjPS1_
    .private_segment_fixed_size: 0
    .sgpr_count:     7
    .sgpr_spill_count: 0
    .symbol:         _Z6kernelI23blocked_to_warp_stripediLj256ELj2ELj100EEvPKT0_PKjPS1_.kd
    .uniform_work_group_size: 1
    .uses_dynamic_stack: false
    .vgpr_count:     9
    .vgpr_spill_count: 0
    .wavefront_size: 32
  - .args:
      - .address_space:  global
        .offset:         0
        .size:           8
        .value_kind:     global_buffer
      - .address_space:  global
        .offset:         8
        .size:           8
        .value_kind:     global_buffer
      - .address_space:  global
        .offset:         16
        .size:           8
        .value_kind:     global_buffer
    .group_segment_fixed_size: 3072
    .kernarg_segment_align: 8
    .kernarg_segment_size: 24
    .language:       OpenCL C
    .language_version:
      - 2
      - 0
    .max_flat_workgroup_size: 256
    .name:           _Z6kernelI23blocked_to_warp_stripediLj256ELj3ELj100EEvPKT0_PKjPS1_
    .private_segment_fixed_size: 0
    .sgpr_count:     7
    .sgpr_spill_count: 0
    .symbol:         _Z6kernelI23blocked_to_warp_stripediLj256ELj3ELj100EEvPKT0_PKjPS1_.kd
    .uniform_work_group_size: 1
    .uses_dynamic_stack: false
    .vgpr_count:     8
    .vgpr_spill_count: 0
    .wavefront_size: 32
  - .args:
      - .address_space:  global
        .offset:         0
        .size:           8
        .value_kind:     global_buffer
      - .address_space:  global
        .offset:         8
        .size:           8
        .value_kind:     global_buffer
      - .address_space:  global
        .offset:         16
        .size:           8
        .value_kind:     global_buffer
    .group_segment_fixed_size: 4224
    .kernarg_segment_align: 8
    .kernarg_segment_size: 24
    .language:       OpenCL C
    .language_version:
      - 2
      - 0
    .max_flat_workgroup_size: 256
    .name:           _Z6kernelI23blocked_to_warp_stripediLj256ELj4ELj100EEvPKT0_PKjPS1_
    .private_segment_fixed_size: 0
    .sgpr_count:     7
    .sgpr_spill_count: 0
    .symbol:         _Z6kernelI23blocked_to_warp_stripediLj256ELj4ELj100EEvPKT0_PKjPS1_.kd
    .uniform_work_group_size: 1
    .uses_dynamic_stack: false
    .vgpr_count:     14
    .vgpr_spill_count: 0
    .wavefront_size: 32
  - .args:
      - .address_space:  global
        .offset:         0
        .size:           8
        .value_kind:     global_buffer
      - .address_space:  global
        .offset:         8
        .size:           8
        .value_kind:     global_buffer
      - .address_space:  global
        .offset:         16
        .size:           8
        .value_kind:     global_buffer
    .group_segment_fixed_size: 7168
    .kernarg_segment_align: 8
    .kernarg_segment_size: 24
    .language:       OpenCL C
    .language_version:
      - 2
      - 0
    .max_flat_workgroup_size: 256
    .name:           _Z6kernelI23blocked_to_warp_stripediLj256ELj7ELj100EEvPKT0_PKjPS1_
    .private_segment_fixed_size: 0
    .sgpr_count:     7
    .sgpr_spill_count: 0
    .symbol:         _Z6kernelI23blocked_to_warp_stripediLj256ELj7ELj100EEvPKT0_PKjPS1_.kd
    .uniform_work_group_size: 1
    .uses_dynamic_stack: false
    .vgpr_count:     12
    .vgpr_spill_count: 0
    .wavefront_size: 32
  - .args:
      - .address_space:  global
        .offset:         0
        .size:           8
        .value_kind:     global_buffer
      - .address_space:  global
        .offset:         8
        .size:           8
        .value_kind:     global_buffer
      - .address_space:  global
        .offset:         16
        .size:           8
        .value_kind:     global_buffer
    .group_segment_fixed_size: 8448
    .kernarg_segment_align: 8
    .kernarg_segment_size: 24
    .language:       OpenCL C
    .language_version:
      - 2
      - 0
    .max_flat_workgroup_size: 256
    .name:           _Z6kernelI23blocked_to_warp_stripediLj256ELj8ELj100EEvPKT0_PKjPS1_
    .private_segment_fixed_size: 0
    .sgpr_count:     7
    .sgpr_spill_count: 0
    .symbol:         _Z6kernelI23blocked_to_warp_stripediLj256ELj8ELj100EEvPKT0_PKjPS1_.kd
    .uniform_work_group_size: 1
    .uses_dynamic_stack: false
    .vgpr_count:     20
    .vgpr_spill_count: 0
    .wavefront_size: 32
  - .args:
      - .address_space:  global
        .offset:         0
        .size:           8
        .value_kind:     global_buffer
      - .address_space:  global
        .offset:         8
        .size:           8
        .value_kind:     global_buffer
      - .address_space:  global
        .offset:         16
        .size:           8
        .value_kind:     global_buffer
    .group_segment_fixed_size: 256
    .kernarg_segment_align: 8
    .kernarg_segment_size: 24
    .language:       OpenCL C
    .language_version:
      - 2
      - 0
    .max_flat_workgroup_size: 256
    .name:           _Z6kernelI23blocked_to_warp_stripedaLj256ELj1ELj100EEvPKT0_PKjPS1_
    .private_segment_fixed_size: 0
    .sgpr_count:     7
    .sgpr_spill_count: 0
    .symbol:         _Z6kernelI23blocked_to_warp_stripedaLj256ELj1ELj100EEvPKT0_PKjPS1_.kd
    .uniform_work_group_size: 1
    .uses_dynamic_stack: false
    .vgpr_count:     8
    .vgpr_spill_count: 0
    .wavefront_size: 32
  - .args:
      - .address_space:  global
        .offset:         0
        .size:           8
        .value_kind:     global_buffer
      - .address_space:  global
        .offset:         8
        .size:           8
        .value_kind:     global_buffer
      - .address_space:  global
        .offset:         16
        .size:           8
        .value_kind:     global_buffer
    .group_segment_fixed_size: 528
    .kernarg_segment_align: 8
    .kernarg_segment_size: 24
    .language:       OpenCL C
    .language_version:
      - 2
      - 0
    .max_flat_workgroup_size: 256
    .name:           _Z6kernelI23blocked_to_warp_stripedaLj256ELj2ELj100EEvPKT0_PKjPS1_
    .private_segment_fixed_size: 0
    .sgpr_count:     7
    .sgpr_spill_count: 0
    .symbol:         _Z6kernelI23blocked_to_warp_stripedaLj256ELj2ELj100EEvPKT0_PKjPS1_.kd
    .uniform_work_group_size: 1
    .uses_dynamic_stack: false
    .vgpr_count:     8
    .vgpr_spill_count: 0
    .wavefront_size: 32
  - .args:
      - .address_space:  global
        .offset:         0
        .size:           8
        .value_kind:     global_buffer
      - .address_space:  global
        .offset:         8
        .size:           8
        .value_kind:     global_buffer
      - .address_space:  global
        .offset:         16
        .size:           8
        .value_kind:     global_buffer
    .group_segment_fixed_size: 768
    .kernarg_segment_align: 8
    .kernarg_segment_size: 24
    .language:       OpenCL C
    .language_version:
      - 2
      - 0
    .max_flat_workgroup_size: 256
    .name:           _Z6kernelI23blocked_to_warp_stripedaLj256ELj3ELj100EEvPKT0_PKjPS1_
    .private_segment_fixed_size: 0
    .sgpr_count:     7
    .sgpr_spill_count: 0
    .symbol:         _Z6kernelI23blocked_to_warp_stripedaLj256ELj3ELj100EEvPKT0_PKjPS1_.kd
    .uniform_work_group_size: 1
    .uses_dynamic_stack: false
    .vgpr_count:     9
    .vgpr_spill_count: 0
    .wavefront_size: 32
  - .args:
      - .address_space:  global
        .offset:         0
        .size:           8
        .value_kind:     global_buffer
      - .address_space:  global
        .offset:         8
        .size:           8
        .value_kind:     global_buffer
      - .address_space:  global
        .offset:         16
        .size:           8
        .value_kind:     global_buffer
    .group_segment_fixed_size: 1056
    .kernarg_segment_align: 8
    .kernarg_segment_size: 24
    .language:       OpenCL C
    .language_version:
      - 2
      - 0
    .max_flat_workgroup_size: 256
    .name:           _Z6kernelI23blocked_to_warp_stripedaLj256ELj4ELj100EEvPKT0_PKjPS1_
    .private_segment_fixed_size: 0
    .sgpr_count:     7
    .sgpr_spill_count: 0
    .symbol:         _Z6kernelI23blocked_to_warp_stripedaLj256ELj4ELj100EEvPKT0_PKjPS1_.kd
    .uniform_work_group_size: 1
    .uses_dynamic_stack: false
    .vgpr_count:     12
    .vgpr_spill_count: 0
    .wavefront_size: 32
  - .args:
      - .address_space:  global
        .offset:         0
        .size:           8
        .value_kind:     global_buffer
      - .address_space:  global
        .offset:         8
        .size:           8
        .value_kind:     global_buffer
      - .address_space:  global
        .offset:         16
        .size:           8
        .value_kind:     global_buffer
    .group_segment_fixed_size: 1792
    .kernarg_segment_align: 8
    .kernarg_segment_size: 24
    .language:       OpenCL C
    .language_version:
      - 2
      - 0
    .max_flat_workgroup_size: 256
    .name:           _Z6kernelI23blocked_to_warp_stripedaLj256ELj7ELj100EEvPKT0_PKjPS1_
    .private_segment_fixed_size: 0
    .sgpr_count:     7
    .sgpr_spill_count: 0
    .symbol:         _Z6kernelI23blocked_to_warp_stripedaLj256ELj7ELj100EEvPKT0_PKjPS1_.kd
    .uniform_work_group_size: 1
    .uses_dynamic_stack: false
    .vgpr_count:     14
    .vgpr_spill_count: 0
    .wavefront_size: 32
  - .args:
      - .address_space:  global
        .offset:         0
        .size:           8
        .value_kind:     global_buffer
      - .address_space:  global
        .offset:         8
        .size:           8
        .value_kind:     global_buffer
      - .address_space:  global
        .offset:         16
        .size:           8
        .value_kind:     global_buffer
    .group_segment_fixed_size: 2112
    .kernarg_segment_align: 8
    .kernarg_segment_size: 24
    .language:       OpenCL C
    .language_version:
      - 2
      - 0
    .max_flat_workgroup_size: 256
    .name:           _Z6kernelI23blocked_to_warp_stripedaLj256ELj8ELj100EEvPKT0_PKjPS1_
    .private_segment_fixed_size: 0
    .sgpr_count:     7
    .sgpr_spill_count: 0
    .symbol:         _Z6kernelI23blocked_to_warp_stripedaLj256ELj8ELj100EEvPKT0_PKjPS1_.kd
    .uniform_work_group_size: 1
    .uses_dynamic_stack: false
    .vgpr_count:     19
    .vgpr_spill_count: 0
    .wavefront_size: 32
  - .args:
      - .address_space:  global
        .offset:         0
        .size:           8
        .value_kind:     global_buffer
      - .address_space:  global
        .offset:         8
        .size:           8
        .value_kind:     global_buffer
      - .address_space:  global
        .offset:         16
        .size:           8
        .value_kind:     global_buffer
    .group_segment_fixed_size: 2048
    .kernarg_segment_align: 8
    .kernarg_segment_size: 24
    .language:       OpenCL C
    .language_version:
      - 2
      - 0
    .max_flat_workgroup_size: 256
    .name:           _Z6kernelI23blocked_to_warp_stripedxLj256ELj1ELj100EEvPKT0_PKjPS1_
    .private_segment_fixed_size: 0
    .sgpr_count:     7
    .sgpr_spill_count: 0
    .symbol:         _Z6kernelI23blocked_to_warp_stripedxLj256ELj1ELj100EEvPKT0_PKjPS1_.kd
    .uniform_work_group_size: 1
    .uses_dynamic_stack: false
    .vgpr_count:     8
    .vgpr_spill_count: 0
    .wavefront_size: 32
  - .args:
      - .address_space:  global
        .offset:         0
        .size:           8
        .value_kind:     global_buffer
      - .address_space:  global
        .offset:         8
        .size:           8
        .value_kind:     global_buffer
      - .address_space:  global
        .offset:         16
        .size:           8
        .value_kind:     global_buffer
    .group_segment_fixed_size: 4224
    .kernarg_segment_align: 8
    .kernarg_segment_size: 24
    .language:       OpenCL C
    .language_version:
      - 2
      - 0
    .max_flat_workgroup_size: 256
    .name:           _Z6kernelI23blocked_to_warp_stripedxLj256ELj2ELj100EEvPKT0_PKjPS1_
    .private_segment_fixed_size: 0
    .sgpr_count:     7
    .sgpr_spill_count: 0
    .symbol:         _Z6kernelI23blocked_to_warp_stripedxLj256ELj2ELj100EEvPKT0_PKjPS1_.kd
    .uniform_work_group_size: 1
    .uses_dynamic_stack: false
    .vgpr_count:     11
    .vgpr_spill_count: 0
    .wavefront_size: 32
  - .args:
      - .address_space:  global
        .offset:         0
        .size:           8
        .value_kind:     global_buffer
      - .address_space:  global
        .offset:         8
        .size:           8
        .value_kind:     global_buffer
      - .address_space:  global
        .offset:         16
        .size:           8
        .value_kind:     global_buffer
    .group_segment_fixed_size: 6144
    .kernarg_segment_align: 8
    .kernarg_segment_size: 24
    .language:       OpenCL C
    .language_version:
      - 2
      - 0
    .max_flat_workgroup_size: 256
    .name:           _Z6kernelI23blocked_to_warp_stripedxLj256ELj3ELj100EEvPKT0_PKjPS1_
    .private_segment_fixed_size: 0
    .sgpr_count:     7
    .sgpr_spill_count: 0
    .symbol:         _Z6kernelI23blocked_to_warp_stripedxLj256ELj3ELj100EEvPKT0_PKjPS1_.kd
    .uniform_work_group_size: 1
    .uses_dynamic_stack: false
    .vgpr_count:     11
    .vgpr_spill_count: 0
    .wavefront_size: 32
  - .args:
      - .address_space:  global
        .offset:         0
        .size:           8
        .value_kind:     global_buffer
      - .address_space:  global
        .offset:         8
        .size:           8
        .value_kind:     global_buffer
      - .address_space:  global
        .offset:         16
        .size:           8
        .value_kind:     global_buffer
    .group_segment_fixed_size: 8448
    .kernarg_segment_align: 8
    .kernarg_segment_size: 24
    .language:       OpenCL C
    .language_version:
      - 2
      - 0
    .max_flat_workgroup_size: 256
    .name:           _Z6kernelI23blocked_to_warp_stripedxLj256ELj4ELj100EEvPKT0_PKjPS1_
    .private_segment_fixed_size: 0
    .sgpr_count:     7
    .sgpr_spill_count: 0
    .symbol:         _Z6kernelI23blocked_to_warp_stripedxLj256ELj4ELj100EEvPKT0_PKjPS1_.kd
    .uniform_work_group_size: 1
    .uses_dynamic_stack: false
    .vgpr_count:     18
    .vgpr_spill_count: 0
    .wavefront_size: 32
  - .args:
      - .address_space:  global
        .offset:         0
        .size:           8
        .value_kind:     global_buffer
      - .address_space:  global
        .offset:         8
        .size:           8
        .value_kind:     global_buffer
      - .address_space:  global
        .offset:         16
        .size:           8
        .value_kind:     global_buffer
    .group_segment_fixed_size: 14336
    .kernarg_segment_align: 8
    .kernarg_segment_size: 24
    .language:       OpenCL C
    .language_version:
      - 2
      - 0
    .max_flat_workgroup_size: 256
    .name:           _Z6kernelI23blocked_to_warp_stripedxLj256ELj7ELj100EEvPKT0_PKjPS1_
    .private_segment_fixed_size: 0
    .sgpr_count:     7
    .sgpr_spill_count: 0
    .symbol:         _Z6kernelI23blocked_to_warp_stripedxLj256ELj7ELj100EEvPKT0_PKjPS1_.kd
    .uniform_work_group_size: 1
    .uses_dynamic_stack: false
    .vgpr_count:     19
    .vgpr_spill_count: 0
    .wavefront_size: 32
  - .args:
      - .address_space:  global
        .offset:         0
        .size:           8
        .value_kind:     global_buffer
      - .address_space:  global
        .offset:         8
        .size:           8
        .value_kind:     global_buffer
      - .address_space:  global
        .offset:         16
        .size:           8
        .value_kind:     global_buffer
    .group_segment_fixed_size: 16896
    .kernarg_segment_align: 8
    .kernarg_segment_size: 24
    .language:       OpenCL C
    .language_version:
      - 2
      - 0
    .max_flat_workgroup_size: 256
    .name:           _Z6kernelI23blocked_to_warp_stripedxLj256ELj8ELj100EEvPKT0_PKjPS1_
    .private_segment_fixed_size: 0
    .sgpr_count:     7
    .sgpr_spill_count: 0
    .symbol:         _Z6kernelI23blocked_to_warp_stripedxLj256ELj8ELj100EEvPKT0_PKjPS1_.kd
    .uniform_work_group_size: 1
    .uses_dynamic_stack: false
    .vgpr_count:     28
    .vgpr_spill_count: 0
    .wavefront_size: 32
  - .args:
      - .address_space:  global
        .offset:         0
        .size:           8
        .value_kind:     global_buffer
      - .address_space:  global
        .offset:         8
        .size:           8
        .value_kind:     global_buffer
      - .address_space:  global
        .offset:         16
        .size:           8
        .value_kind:     global_buffer
    .group_segment_fixed_size: 2048
    .kernarg_segment_align: 8
    .kernarg_segment_size: 24
    .language:       OpenCL C
    .language_version:
      - 2
      - 0
    .max_flat_workgroup_size: 256
    .name:           _Z6kernelI23blocked_to_warp_stripedN15benchmark_utils11custom_typeIffEELj256ELj1ELj100EEvPKT0_PKjPS4_
    .private_segment_fixed_size: 0
    .sgpr_count:     7
    .sgpr_spill_count: 0
    .symbol:         _Z6kernelI23blocked_to_warp_stripedN15benchmark_utils11custom_typeIffEELj256ELj1ELj100EEvPKT0_PKjPS4_.kd
    .uniform_work_group_size: 1
    .uses_dynamic_stack: false
    .vgpr_count:     8
    .vgpr_spill_count: 0
    .wavefront_size: 32
  - .args:
      - .address_space:  global
        .offset:         0
        .size:           8
        .value_kind:     global_buffer
      - .address_space:  global
        .offset:         8
        .size:           8
        .value_kind:     global_buffer
      - .address_space:  global
        .offset:         16
        .size:           8
        .value_kind:     global_buffer
    .group_segment_fixed_size: 4224
    .kernarg_segment_align: 8
    .kernarg_segment_size: 24
    .language:       OpenCL C
    .language_version:
      - 2
      - 0
    .max_flat_workgroup_size: 256
    .name:           _Z6kernelI23blocked_to_warp_stripedN15benchmark_utils11custom_typeIffEELj256ELj2ELj100EEvPKT0_PKjPS4_
    .private_segment_fixed_size: 0
    .sgpr_count:     7
    .sgpr_spill_count: 0
    .symbol:         _Z6kernelI23blocked_to_warp_stripedN15benchmark_utils11custom_typeIffEELj256ELj2ELj100EEvPKT0_PKjPS4_.kd
    .uniform_work_group_size: 1
    .uses_dynamic_stack: false
    .vgpr_count:     11
    .vgpr_spill_count: 0
    .wavefront_size: 32
  - .args:
      - .address_space:  global
        .offset:         0
        .size:           8
        .value_kind:     global_buffer
      - .address_space:  global
        .offset:         8
        .size:           8
        .value_kind:     global_buffer
      - .address_space:  global
        .offset:         16
        .size:           8
        .value_kind:     global_buffer
    .group_segment_fixed_size: 6144
    .kernarg_segment_align: 8
    .kernarg_segment_size: 24
    .language:       OpenCL C
    .language_version:
      - 2
      - 0
    .max_flat_workgroup_size: 256
    .name:           _Z6kernelI23blocked_to_warp_stripedN15benchmark_utils11custom_typeIffEELj256ELj3ELj100EEvPKT0_PKjPS4_
    .private_segment_fixed_size: 0
    .sgpr_count:     7
    .sgpr_spill_count: 0
    .symbol:         _Z6kernelI23blocked_to_warp_stripedN15benchmark_utils11custom_typeIffEELj256ELj3ELj100EEvPKT0_PKjPS4_.kd
    .uniform_work_group_size: 1
    .uses_dynamic_stack: false
    .vgpr_count:     11
    .vgpr_spill_count: 0
    .wavefront_size: 32
  - .args:
      - .address_space:  global
        .offset:         0
        .size:           8
        .value_kind:     global_buffer
      - .address_space:  global
        .offset:         8
        .size:           8
        .value_kind:     global_buffer
      - .address_space:  global
        .offset:         16
        .size:           8
        .value_kind:     global_buffer
    .group_segment_fixed_size: 8448
    .kernarg_segment_align: 8
    .kernarg_segment_size: 24
    .language:       OpenCL C
    .language_version:
      - 2
      - 0
    .max_flat_workgroup_size: 256
    .name:           _Z6kernelI23blocked_to_warp_stripedN15benchmark_utils11custom_typeIffEELj256ELj4ELj100EEvPKT0_PKjPS4_
    .private_segment_fixed_size: 0
    .sgpr_count:     7
    .sgpr_spill_count: 0
    .symbol:         _Z6kernelI23blocked_to_warp_stripedN15benchmark_utils11custom_typeIffEELj256ELj4ELj100EEvPKT0_PKjPS4_.kd
    .uniform_work_group_size: 1
    .uses_dynamic_stack: false
    .vgpr_count:     18
    .vgpr_spill_count: 0
    .wavefront_size: 32
  - .args:
      - .address_space:  global
        .offset:         0
        .size:           8
        .value_kind:     global_buffer
      - .address_space:  global
        .offset:         8
        .size:           8
        .value_kind:     global_buffer
      - .address_space:  global
        .offset:         16
        .size:           8
        .value_kind:     global_buffer
    .group_segment_fixed_size: 14336
    .kernarg_segment_align: 8
    .kernarg_segment_size: 24
    .language:       OpenCL C
    .language_version:
      - 2
      - 0
    .max_flat_workgroup_size: 256
    .name:           _Z6kernelI23blocked_to_warp_stripedN15benchmark_utils11custom_typeIffEELj256ELj7ELj100EEvPKT0_PKjPS4_
    .private_segment_fixed_size: 0
    .sgpr_count:     7
    .sgpr_spill_count: 0
    .symbol:         _Z6kernelI23blocked_to_warp_stripedN15benchmark_utils11custom_typeIffEELj256ELj7ELj100EEvPKT0_PKjPS4_.kd
    .uniform_work_group_size: 1
    .uses_dynamic_stack: false
    .vgpr_count:     19
    .vgpr_spill_count: 0
    .wavefront_size: 32
  - .args:
      - .address_space:  global
        .offset:         0
        .size:           8
        .value_kind:     global_buffer
      - .address_space:  global
        .offset:         8
        .size:           8
        .value_kind:     global_buffer
      - .address_space:  global
        .offset:         16
        .size:           8
        .value_kind:     global_buffer
    .group_segment_fixed_size: 16896
    .kernarg_segment_align: 8
    .kernarg_segment_size: 24
    .language:       OpenCL C
    .language_version:
      - 2
      - 0
    .max_flat_workgroup_size: 256
    .name:           _Z6kernelI23blocked_to_warp_stripedN15benchmark_utils11custom_typeIffEELj256ELj8ELj100EEvPKT0_PKjPS4_
    .private_segment_fixed_size: 0
    .sgpr_count:     7
    .sgpr_spill_count: 0
    .symbol:         _Z6kernelI23blocked_to_warp_stripedN15benchmark_utils11custom_typeIffEELj256ELj8ELj100EEvPKT0_PKjPS4_.kd
    .uniform_work_group_size: 1
    .uses_dynamic_stack: false
    .vgpr_count:     28
    .vgpr_spill_count: 0
    .wavefront_size: 32
  - .args:
      - .address_space:  global
        .offset:         0
        .size:           8
        .value_kind:     global_buffer
      - .address_space:  global
        .offset:         8
        .size:           8
        .value_kind:     global_buffer
      - .address_space:  global
        .offset:         16
        .size:           8
        .value_kind:     global_buffer
    .group_segment_fixed_size: 4096
    .kernarg_segment_align: 8
    .kernarg_segment_size: 24
    .language:       OpenCL C
    .language_version:
      - 2
      - 0
    .max_flat_workgroup_size: 256
    .name:           _Z6kernelI23blocked_to_warp_stripedN15benchmark_utils11custom_typeIddEELj256ELj1ELj100EEvPKT0_PKjPS4_
    .private_segment_fixed_size: 0
    .sgpr_count:     7
    .sgpr_spill_count: 0
    .symbol:         _Z6kernelI23blocked_to_warp_stripedN15benchmark_utils11custom_typeIddEELj256ELj1ELj100EEvPKT0_PKjPS4_.kd
    .uniform_work_group_size: 1
    .uses_dynamic_stack: false
    .vgpr_count:     10
    .vgpr_spill_count: 0
    .wavefront_size: 32
  - .args:
      - .address_space:  global
        .offset:         0
        .size:           8
        .value_kind:     global_buffer
      - .address_space:  global
        .offset:         8
        .size:           8
        .value_kind:     global_buffer
      - .address_space:  global
        .offset:         16
        .size:           8
        .value_kind:     global_buffer
    .group_segment_fixed_size: 8448
    .kernarg_segment_align: 8
    .kernarg_segment_size: 24
    .language:       OpenCL C
    .language_version:
      - 2
      - 0
    .max_flat_workgroup_size: 256
    .name:           _Z6kernelI23blocked_to_warp_stripedN15benchmark_utils11custom_typeIddEELj256ELj2ELj100EEvPKT0_PKjPS4_
    .private_segment_fixed_size: 0
    .sgpr_count:     7
    .sgpr_spill_count: 0
    .symbol:         _Z6kernelI23blocked_to_warp_stripedN15benchmark_utils11custom_typeIddEELj256ELj2ELj100EEvPKT0_PKjPS4_.kd
    .uniform_work_group_size: 1
    .uses_dynamic_stack: false
    .vgpr_count:     15
    .vgpr_spill_count: 0
    .wavefront_size: 32
  - .args:
      - .address_space:  global
        .offset:         0
        .size:           8
        .value_kind:     global_buffer
      - .address_space:  global
        .offset:         8
        .size:           8
        .value_kind:     global_buffer
      - .address_space:  global
        .offset:         16
        .size:           8
        .value_kind:     global_buffer
    .group_segment_fixed_size: 12288
    .kernarg_segment_align: 8
    .kernarg_segment_size: 24
    .language:       OpenCL C
    .language_version:
      - 2
      - 0
    .max_flat_workgroup_size: 256
    .name:           _Z6kernelI23blocked_to_warp_stripedN15benchmark_utils11custom_typeIddEELj256ELj3ELj100EEvPKT0_PKjPS4_
    .private_segment_fixed_size: 0
    .sgpr_count:     7
    .sgpr_spill_count: 0
    .symbol:         _Z6kernelI23blocked_to_warp_stripedN15benchmark_utils11custom_typeIddEELj256ELj3ELj100EEvPKT0_PKjPS4_.kd
    .uniform_work_group_size: 1
    .uses_dynamic_stack: false
    .vgpr_count:     17
    .vgpr_spill_count: 0
    .wavefront_size: 32
  - .args:
      - .address_space:  global
        .offset:         0
        .size:           8
        .value_kind:     global_buffer
      - .address_space:  global
        .offset:         8
        .size:           8
        .value_kind:     global_buffer
      - .address_space:  global
        .offset:         16
        .size:           8
        .value_kind:     global_buffer
    .group_segment_fixed_size: 16896
    .kernarg_segment_align: 8
    .kernarg_segment_size: 24
    .language:       OpenCL C
    .language_version:
      - 2
      - 0
    .max_flat_workgroup_size: 256
    .name:           _Z6kernelI23blocked_to_warp_stripedN15benchmark_utils11custom_typeIddEELj256ELj4ELj100EEvPKT0_PKjPS4_
    .private_segment_fixed_size: 0
    .sgpr_count:     7
    .sgpr_spill_count: 0
    .symbol:         _Z6kernelI23blocked_to_warp_stripedN15benchmark_utils11custom_typeIddEELj256ELj4ELj100EEvPKT0_PKjPS4_.kd
    .uniform_work_group_size: 1
    .uses_dynamic_stack: false
    .vgpr_count:     26
    .vgpr_spill_count: 0
    .wavefront_size: 32
  - .args:
      - .address_space:  global
        .offset:         0
        .size:           8
        .value_kind:     global_buffer
      - .address_space:  global
        .offset:         8
        .size:           8
        .value_kind:     global_buffer
      - .address_space:  global
        .offset:         16
        .size:           8
        .value_kind:     global_buffer
    .group_segment_fixed_size: 28672
    .kernarg_segment_align: 8
    .kernarg_segment_size: 24
    .language:       OpenCL C
    .language_version:
      - 2
      - 0
    .max_flat_workgroup_size: 256
    .name:           _Z6kernelI23blocked_to_warp_stripedN15benchmark_utils11custom_typeIddEELj256ELj7ELj100EEvPKT0_PKjPS4_
    .private_segment_fixed_size: 0
    .sgpr_count:     7
    .sgpr_spill_count: 0
    .symbol:         _Z6kernelI23blocked_to_warp_stripedN15benchmark_utils11custom_typeIddEELj256ELj7ELj100EEvPKT0_PKjPS4_.kd
    .uniform_work_group_size: 1
    .uses_dynamic_stack: false
    .vgpr_count:     33
    .vgpr_spill_count: 0
    .wavefront_size: 32
  - .args:
      - .address_space:  global
        .offset:         0
        .size:           8
        .value_kind:     global_buffer
      - .address_space:  global
        .offset:         8
        .size:           8
        .value_kind:     global_buffer
      - .address_space:  global
        .offset:         16
        .size:           8
        .value_kind:     global_buffer
    .group_segment_fixed_size: 33792
    .kernarg_segment_align: 8
    .kernarg_segment_size: 24
    .language:       OpenCL C
    .language_version:
      - 2
      - 0
    .max_flat_workgroup_size: 256
    .name:           _Z6kernelI23blocked_to_warp_stripedN15benchmark_utils11custom_typeIddEELj256ELj8ELj100EEvPKT0_PKjPS4_
    .private_segment_fixed_size: 0
    .sgpr_count:     7
    .sgpr_spill_count: 0
    .symbol:         _Z6kernelI23blocked_to_warp_stripedN15benchmark_utils11custom_typeIddEELj256ELj8ELj100EEvPKT0_PKjPS4_.kd
    .uniform_work_group_size: 1
    .uses_dynamic_stack: false
    .vgpr_count:     44
    .vgpr_spill_count: 0
    .wavefront_size: 32
  - .args:
      - .address_space:  global
        .offset:         0
        .size:           8
        .value_kind:     global_buffer
      - .address_space:  global
        .offset:         8
        .size:           8
        .value_kind:     global_buffer
      - .address_space:  global
        .offset:         16
        .size:           8
        .value_kind:     global_buffer
    .group_segment_fixed_size: 1024
    .kernarg_segment_align: 8
    .kernarg_segment_size: 24
    .language:       OpenCL C
    .language_version:
      - 2
      - 0
    .max_flat_workgroup_size: 256
    .name:           _Z6kernelI23warp_striped_to_blockediLj256ELj1ELj100EEvPKT0_PKjPS1_
    .private_segment_fixed_size: 0
    .sgpr_count:     7
    .sgpr_spill_count: 0
    .symbol:         _Z6kernelI23warp_striped_to_blockediLj256ELj1ELj100EEvPKT0_PKjPS1_.kd
    .uniform_work_group_size: 1
    .uses_dynamic_stack: false
    .vgpr_count:     8
    .vgpr_spill_count: 0
    .wavefront_size: 32
  - .args:
      - .address_space:  global
        .offset:         0
        .size:           8
        .value_kind:     global_buffer
      - .address_space:  global
        .offset:         8
        .size:           8
        .value_kind:     global_buffer
      - .address_space:  global
        .offset:         16
        .size:           8
        .value_kind:     global_buffer
    .group_segment_fixed_size: 2112
    .kernarg_segment_align: 8
    .kernarg_segment_size: 24
    .language:       OpenCL C
    .language_version:
      - 2
      - 0
    .max_flat_workgroup_size: 256
    .name:           _Z6kernelI23warp_striped_to_blockediLj256ELj2ELj100EEvPKT0_PKjPS1_
    .private_segment_fixed_size: 0
    .sgpr_count:     8
    .sgpr_spill_count: 0
    .symbol:         _Z6kernelI23warp_striped_to_blockediLj256ELj2ELj100EEvPKT0_PKjPS1_.kd
    .uniform_work_group_size: 1
    .uses_dynamic_stack: false
    .vgpr_count:     9
    .vgpr_spill_count: 0
    .wavefront_size: 32
  - .args:
      - .address_space:  global
        .offset:         0
        .size:           8
        .value_kind:     global_buffer
      - .address_space:  global
        .offset:         8
        .size:           8
        .value_kind:     global_buffer
      - .address_space:  global
        .offset:         16
        .size:           8
        .value_kind:     global_buffer
    .group_segment_fixed_size: 3072
    .kernarg_segment_align: 8
    .kernarg_segment_size: 24
    .language:       OpenCL C
    .language_version:
      - 2
      - 0
    .max_flat_workgroup_size: 256
    .name:           _Z6kernelI23warp_striped_to_blockediLj256ELj3ELj100EEvPKT0_PKjPS1_
    .private_segment_fixed_size: 0
    .sgpr_count:     8
    .sgpr_spill_count: 0
    .symbol:         _Z6kernelI23warp_striped_to_blockediLj256ELj3ELj100EEvPKT0_PKjPS1_.kd
    .uniform_work_group_size: 1
    .uses_dynamic_stack: false
    .vgpr_count:     11
    .vgpr_spill_count: 0
    .wavefront_size: 32
  - .args:
      - .address_space:  global
        .offset:         0
        .size:           8
        .value_kind:     global_buffer
      - .address_space:  global
        .offset:         8
        .size:           8
        .value_kind:     global_buffer
      - .address_space:  global
        .offset:         16
        .size:           8
        .value_kind:     global_buffer
    .group_segment_fixed_size: 4224
    .kernarg_segment_align: 8
    .kernarg_segment_size: 24
    .language:       OpenCL C
    .language_version:
      - 2
      - 0
    .max_flat_workgroup_size: 256
    .name:           _Z6kernelI23warp_striped_to_blockediLj256ELj4ELj100EEvPKT0_PKjPS1_
    .private_segment_fixed_size: 0
    .sgpr_count:     8
    .sgpr_spill_count: 0
    .symbol:         _Z6kernelI23warp_striped_to_blockediLj256ELj4ELj100EEvPKT0_PKjPS1_.kd
    .uniform_work_group_size: 1
    .uses_dynamic_stack: false
    .vgpr_count:     13
    .vgpr_spill_count: 0
    .wavefront_size: 32
  - .args:
      - .address_space:  global
        .offset:         0
        .size:           8
        .value_kind:     global_buffer
      - .address_space:  global
        .offset:         8
        .size:           8
        .value_kind:     global_buffer
      - .address_space:  global
        .offset:         16
        .size:           8
        .value_kind:     global_buffer
    .group_segment_fixed_size: 7168
    .kernarg_segment_align: 8
    .kernarg_segment_size: 24
    .language:       OpenCL C
    .language_version:
      - 2
      - 0
    .max_flat_workgroup_size: 256
    .name:           _Z6kernelI23warp_striped_to_blockediLj256ELj7ELj100EEvPKT0_PKjPS1_
    .private_segment_fixed_size: 0
    .sgpr_count:     8
    .sgpr_spill_count: 0
    .symbol:         _Z6kernelI23warp_striped_to_blockediLj256ELj7ELj100EEvPKT0_PKjPS1_.kd
    .uniform_work_group_size: 1
    .uses_dynamic_stack: false
    .vgpr_count:     14
    .vgpr_spill_count: 0
    .wavefront_size: 32
  - .args:
      - .address_space:  global
        .offset:         0
        .size:           8
        .value_kind:     global_buffer
      - .address_space:  global
        .offset:         8
        .size:           8
        .value_kind:     global_buffer
      - .address_space:  global
        .offset:         16
        .size:           8
        .value_kind:     global_buffer
    .group_segment_fixed_size: 8448
    .kernarg_segment_align: 8
    .kernarg_segment_size: 24
    .language:       OpenCL C
    .language_version:
      - 2
      - 0
    .max_flat_workgroup_size: 256
    .name:           _Z6kernelI23warp_striped_to_blockediLj256ELj8ELj100EEvPKT0_PKjPS1_
    .private_segment_fixed_size: 0
    .sgpr_count:     8
    .sgpr_spill_count: 0
    .symbol:         _Z6kernelI23warp_striped_to_blockediLj256ELj8ELj100EEvPKT0_PKjPS1_.kd
    .uniform_work_group_size: 1
    .uses_dynamic_stack: false
    .vgpr_count:     23
    .vgpr_spill_count: 0
    .wavefront_size: 32
  - .args:
      - .address_space:  global
        .offset:         0
        .size:           8
        .value_kind:     global_buffer
      - .address_space:  global
        .offset:         8
        .size:           8
        .value_kind:     global_buffer
      - .address_space:  global
        .offset:         16
        .size:           8
        .value_kind:     global_buffer
    .group_segment_fixed_size: 256
    .kernarg_segment_align: 8
    .kernarg_segment_size: 24
    .language:       OpenCL C
    .language_version:
      - 2
      - 0
    .max_flat_workgroup_size: 256
    .name:           _Z6kernelI23warp_striped_to_blockedaLj256ELj1ELj100EEvPKT0_PKjPS1_
    .private_segment_fixed_size: 0
    .sgpr_count:     7
    .sgpr_spill_count: 0
    .symbol:         _Z6kernelI23warp_striped_to_blockedaLj256ELj1ELj100EEvPKT0_PKjPS1_.kd
    .uniform_work_group_size: 1
    .uses_dynamic_stack: false
    .vgpr_count:     8
    .vgpr_spill_count: 0
    .wavefront_size: 32
  - .args:
      - .address_space:  global
        .offset:         0
        .size:           8
        .value_kind:     global_buffer
      - .address_space:  global
        .offset:         8
        .size:           8
        .value_kind:     global_buffer
      - .address_space:  global
        .offset:         16
        .size:           8
        .value_kind:     global_buffer
    .group_segment_fixed_size: 528
    .kernarg_segment_align: 8
    .kernarg_segment_size: 24
    .language:       OpenCL C
    .language_version:
      - 2
      - 0
    .max_flat_workgroup_size: 256
    .name:           _Z6kernelI23warp_striped_to_blockedaLj256ELj2ELj100EEvPKT0_PKjPS1_
    .private_segment_fixed_size: 0
    .sgpr_count:     8
    .sgpr_spill_count: 0
    .symbol:         _Z6kernelI23warp_striped_to_blockedaLj256ELj2ELj100EEvPKT0_PKjPS1_.kd
    .uniform_work_group_size: 1
    .uses_dynamic_stack: false
    .vgpr_count:     8
    .vgpr_spill_count: 0
    .wavefront_size: 32
  - .args:
      - .address_space:  global
        .offset:         0
        .size:           8
        .value_kind:     global_buffer
      - .address_space:  global
        .offset:         8
        .size:           8
        .value_kind:     global_buffer
      - .address_space:  global
        .offset:         16
        .size:           8
        .value_kind:     global_buffer
    .group_segment_fixed_size: 768
    .kernarg_segment_align: 8
    .kernarg_segment_size: 24
    .language:       OpenCL C
    .language_version:
      - 2
      - 0
    .max_flat_workgroup_size: 256
    .name:           _Z6kernelI23warp_striped_to_blockedaLj256ELj3ELj100EEvPKT0_PKjPS1_
    .private_segment_fixed_size: 0
    .sgpr_count:     8
    .sgpr_spill_count: 0
    .symbol:         _Z6kernelI23warp_striped_to_blockedaLj256ELj3ELj100EEvPKT0_PKjPS1_.kd
    .uniform_work_group_size: 1
    .uses_dynamic_stack: false
    .vgpr_count:     8
    .vgpr_spill_count: 0
    .wavefront_size: 32
  - .args:
      - .address_space:  global
        .offset:         0
        .size:           8
        .value_kind:     global_buffer
      - .address_space:  global
        .offset:         8
        .size:           8
        .value_kind:     global_buffer
      - .address_space:  global
        .offset:         16
        .size:           8
        .value_kind:     global_buffer
    .group_segment_fixed_size: 1056
    .kernarg_segment_align: 8
    .kernarg_segment_size: 24
    .language:       OpenCL C
    .language_version:
      - 2
      - 0
    .max_flat_workgroup_size: 256
    .name:           _Z6kernelI23warp_striped_to_blockedaLj256ELj4ELj100EEvPKT0_PKjPS1_
    .private_segment_fixed_size: 0
    .sgpr_count:     8
    .sgpr_spill_count: 0
    .symbol:         _Z6kernelI23warp_striped_to_blockedaLj256ELj4ELj100EEvPKT0_PKjPS1_.kd
    .uniform_work_group_size: 1
    .uses_dynamic_stack: false
    .vgpr_count:     11
    .vgpr_spill_count: 0
    .wavefront_size: 32
  - .args:
      - .address_space:  global
        .offset:         0
        .size:           8
        .value_kind:     global_buffer
      - .address_space:  global
        .offset:         8
        .size:           8
        .value_kind:     global_buffer
      - .address_space:  global
        .offset:         16
        .size:           8
        .value_kind:     global_buffer
    .group_segment_fixed_size: 1792
    .kernarg_segment_align: 8
    .kernarg_segment_size: 24
    .language:       OpenCL C
    .language_version:
      - 2
      - 0
    .max_flat_workgroup_size: 256
    .name:           _Z6kernelI23warp_striped_to_blockedaLj256ELj7ELj100EEvPKT0_PKjPS1_
    .private_segment_fixed_size: 0
    .sgpr_count:     8
    .sgpr_spill_count: 0
    .symbol:         _Z6kernelI23warp_striped_to_blockedaLj256ELj7ELj100EEvPKT0_PKjPS1_.kd
    .uniform_work_group_size: 1
    .uses_dynamic_stack: false
    .vgpr_count:     11
    .vgpr_spill_count: 0
    .wavefront_size: 32
  - .args:
      - .address_space:  global
        .offset:         0
        .size:           8
        .value_kind:     global_buffer
      - .address_space:  global
        .offset:         8
        .size:           8
        .value_kind:     global_buffer
      - .address_space:  global
        .offset:         16
        .size:           8
        .value_kind:     global_buffer
    .group_segment_fixed_size: 2112
    .kernarg_segment_align: 8
    .kernarg_segment_size: 24
    .language:       OpenCL C
    .language_version:
      - 2
      - 0
    .max_flat_workgroup_size: 256
    .name:           _Z6kernelI23warp_striped_to_blockedaLj256ELj8ELj100EEvPKT0_PKjPS1_
    .private_segment_fixed_size: 0
    .sgpr_count:     8
    .sgpr_spill_count: 0
    .symbol:         _Z6kernelI23warp_striped_to_blockedaLj256ELj8ELj100EEvPKT0_PKjPS1_.kd
    .uniform_work_group_size: 1
    .uses_dynamic_stack: false
    .vgpr_count:     18
    .vgpr_spill_count: 0
    .wavefront_size: 32
  - .args:
      - .address_space:  global
        .offset:         0
        .size:           8
        .value_kind:     global_buffer
      - .address_space:  global
        .offset:         8
        .size:           8
        .value_kind:     global_buffer
      - .address_space:  global
        .offset:         16
        .size:           8
        .value_kind:     global_buffer
    .group_segment_fixed_size: 2048
    .kernarg_segment_align: 8
    .kernarg_segment_size: 24
    .language:       OpenCL C
    .language_version:
      - 2
      - 0
    .max_flat_workgroup_size: 256
    .name:           _Z6kernelI23warp_striped_to_blockedxLj256ELj1ELj100EEvPKT0_PKjPS1_
    .private_segment_fixed_size: 0
    .sgpr_count:     7
    .sgpr_spill_count: 0
    .symbol:         _Z6kernelI23warp_striped_to_blockedxLj256ELj1ELj100EEvPKT0_PKjPS1_.kd
    .uniform_work_group_size: 1
    .uses_dynamic_stack: false
    .vgpr_count:     8
    .vgpr_spill_count: 0
    .wavefront_size: 32
  - .args:
      - .address_space:  global
        .offset:         0
        .size:           8
        .value_kind:     global_buffer
      - .address_space:  global
        .offset:         8
        .size:           8
        .value_kind:     global_buffer
      - .address_space:  global
        .offset:         16
        .size:           8
        .value_kind:     global_buffer
    .group_segment_fixed_size: 4224
    .kernarg_segment_align: 8
    .kernarg_segment_size: 24
    .language:       OpenCL C
    .language_version:
      - 2
      - 0
    .max_flat_workgroup_size: 256
    .name:           _Z6kernelI23warp_striped_to_blockedxLj256ELj2ELj100EEvPKT0_PKjPS1_
    .private_segment_fixed_size: 0
    .sgpr_count:     8
    .sgpr_spill_count: 0
    .symbol:         _Z6kernelI23warp_striped_to_blockedxLj256ELj2ELj100EEvPKT0_PKjPS1_.kd
    .uniform_work_group_size: 1
    .uses_dynamic_stack: false
    .vgpr_count:     11
    .vgpr_spill_count: 0
    .wavefront_size: 32
  - .args:
      - .address_space:  global
        .offset:         0
        .size:           8
        .value_kind:     global_buffer
      - .address_space:  global
        .offset:         8
        .size:           8
        .value_kind:     global_buffer
      - .address_space:  global
        .offset:         16
        .size:           8
        .value_kind:     global_buffer
    .group_segment_fixed_size: 6144
    .kernarg_segment_align: 8
    .kernarg_segment_size: 24
    .language:       OpenCL C
    .language_version:
      - 2
      - 0
    .max_flat_workgroup_size: 256
    .name:           _Z6kernelI23warp_striped_to_blockedxLj256ELj3ELj100EEvPKT0_PKjPS1_
    .private_segment_fixed_size: 0
    .sgpr_count:     8
    .sgpr_spill_count: 0
    .symbol:         _Z6kernelI23warp_striped_to_blockedxLj256ELj3ELj100EEvPKT0_PKjPS1_.kd
    .uniform_work_group_size: 1
    .uses_dynamic_stack: false
    .vgpr_count:     13
    .vgpr_spill_count: 0
    .wavefront_size: 32
  - .args:
      - .address_space:  global
        .offset:         0
        .size:           8
        .value_kind:     global_buffer
      - .address_space:  global
        .offset:         8
        .size:           8
        .value_kind:     global_buffer
      - .address_space:  global
        .offset:         16
        .size:           8
        .value_kind:     global_buffer
    .group_segment_fixed_size: 8448
    .kernarg_segment_align: 8
    .kernarg_segment_size: 24
    .language:       OpenCL C
    .language_version:
      - 2
      - 0
    .max_flat_workgroup_size: 256
    .name:           _Z6kernelI23warp_striped_to_blockedxLj256ELj4ELj100EEvPKT0_PKjPS1_
    .private_segment_fixed_size: 0
    .sgpr_count:     8
    .sgpr_spill_count: 0
    .symbol:         _Z6kernelI23warp_striped_to_blockedxLj256ELj4ELj100EEvPKT0_PKjPS1_.kd
    .uniform_work_group_size: 1
    .uses_dynamic_stack: false
    .vgpr_count:     18
    .vgpr_spill_count: 0
    .wavefront_size: 32
  - .args:
      - .address_space:  global
        .offset:         0
        .size:           8
        .value_kind:     global_buffer
      - .address_space:  global
        .offset:         8
        .size:           8
        .value_kind:     global_buffer
      - .address_space:  global
        .offset:         16
        .size:           8
        .value_kind:     global_buffer
    .group_segment_fixed_size: 14336
    .kernarg_segment_align: 8
    .kernarg_segment_size: 24
    .language:       OpenCL C
    .language_version:
      - 2
      - 0
    .max_flat_workgroup_size: 256
    .name:           _Z6kernelI23warp_striped_to_blockedxLj256ELj7ELj100EEvPKT0_PKjPS1_
    .private_segment_fixed_size: 0
    .sgpr_count:     8
    .sgpr_spill_count: 0
    .symbol:         _Z6kernelI23warp_striped_to_blockedxLj256ELj7ELj100EEvPKT0_PKjPS1_.kd
    .uniform_work_group_size: 1
    .uses_dynamic_stack: false
    .vgpr_count:     21
    .vgpr_spill_count: 0
    .wavefront_size: 32
  - .args:
      - .address_space:  global
        .offset:         0
        .size:           8
        .value_kind:     global_buffer
      - .address_space:  global
        .offset:         8
        .size:           8
        .value_kind:     global_buffer
      - .address_space:  global
        .offset:         16
        .size:           8
        .value_kind:     global_buffer
    .group_segment_fixed_size: 16896
    .kernarg_segment_align: 8
    .kernarg_segment_size: 24
    .language:       OpenCL C
    .language_version:
      - 2
      - 0
    .max_flat_workgroup_size: 256
    .name:           _Z6kernelI23warp_striped_to_blockedxLj256ELj8ELj100EEvPKT0_PKjPS1_
    .private_segment_fixed_size: 0
    .sgpr_count:     8
    .sgpr_spill_count: 0
    .symbol:         _Z6kernelI23warp_striped_to_blockedxLj256ELj8ELj100EEvPKT0_PKjPS1_.kd
    .uniform_work_group_size: 1
    .uses_dynamic_stack: false
    .vgpr_count:     29
    .vgpr_spill_count: 0
    .wavefront_size: 32
  - .args:
      - .address_space:  global
        .offset:         0
        .size:           8
        .value_kind:     global_buffer
      - .address_space:  global
        .offset:         8
        .size:           8
        .value_kind:     global_buffer
      - .address_space:  global
        .offset:         16
        .size:           8
        .value_kind:     global_buffer
    .group_segment_fixed_size: 2048
    .kernarg_segment_align: 8
    .kernarg_segment_size: 24
    .language:       OpenCL C
    .language_version:
      - 2
      - 0
    .max_flat_workgroup_size: 256
    .name:           _Z6kernelI23warp_striped_to_blockedN15benchmark_utils11custom_typeIffEELj256ELj1ELj100EEvPKT0_PKjPS4_
    .private_segment_fixed_size: 0
    .sgpr_count:     7
    .sgpr_spill_count: 0
    .symbol:         _Z6kernelI23warp_striped_to_blockedN15benchmark_utils11custom_typeIffEELj256ELj1ELj100EEvPKT0_PKjPS4_.kd
    .uniform_work_group_size: 1
    .uses_dynamic_stack: false
    .vgpr_count:     8
    .vgpr_spill_count: 0
    .wavefront_size: 32
  - .args:
      - .address_space:  global
        .offset:         0
        .size:           8
        .value_kind:     global_buffer
      - .address_space:  global
        .offset:         8
        .size:           8
        .value_kind:     global_buffer
      - .address_space:  global
        .offset:         16
        .size:           8
        .value_kind:     global_buffer
    .group_segment_fixed_size: 4224
    .kernarg_segment_align: 8
    .kernarg_segment_size: 24
    .language:       OpenCL C
    .language_version:
      - 2
      - 0
    .max_flat_workgroup_size: 256
    .name:           _Z6kernelI23warp_striped_to_blockedN15benchmark_utils11custom_typeIffEELj256ELj2ELj100EEvPKT0_PKjPS4_
    .private_segment_fixed_size: 0
    .sgpr_count:     8
    .sgpr_spill_count: 0
    .symbol:         _Z6kernelI23warp_striped_to_blockedN15benchmark_utils11custom_typeIffEELj256ELj2ELj100EEvPKT0_PKjPS4_.kd
    .uniform_work_group_size: 1
    .uses_dynamic_stack: false
    .vgpr_count:     11
    .vgpr_spill_count: 0
    .wavefront_size: 32
  - .args:
      - .address_space:  global
        .offset:         0
        .size:           8
        .value_kind:     global_buffer
      - .address_space:  global
        .offset:         8
        .size:           8
        .value_kind:     global_buffer
      - .address_space:  global
        .offset:         16
        .size:           8
        .value_kind:     global_buffer
    .group_segment_fixed_size: 6144
    .kernarg_segment_align: 8
    .kernarg_segment_size: 24
    .language:       OpenCL C
    .language_version:
      - 2
      - 0
    .max_flat_workgroup_size: 256
    .name:           _Z6kernelI23warp_striped_to_blockedN15benchmark_utils11custom_typeIffEELj256ELj3ELj100EEvPKT0_PKjPS4_
    .private_segment_fixed_size: 0
    .sgpr_count:     8
    .sgpr_spill_count: 0
    .symbol:         _Z6kernelI23warp_striped_to_blockedN15benchmark_utils11custom_typeIffEELj256ELj3ELj100EEvPKT0_PKjPS4_.kd
    .uniform_work_group_size: 1
    .uses_dynamic_stack: false
    .vgpr_count:     13
    .vgpr_spill_count: 0
    .wavefront_size: 32
  - .args:
      - .address_space:  global
        .offset:         0
        .size:           8
        .value_kind:     global_buffer
      - .address_space:  global
        .offset:         8
        .size:           8
        .value_kind:     global_buffer
      - .address_space:  global
        .offset:         16
        .size:           8
        .value_kind:     global_buffer
    .group_segment_fixed_size: 8448
    .kernarg_segment_align: 8
    .kernarg_segment_size: 24
    .language:       OpenCL C
    .language_version:
      - 2
      - 0
    .max_flat_workgroup_size: 256
    .name:           _Z6kernelI23warp_striped_to_blockedN15benchmark_utils11custom_typeIffEELj256ELj4ELj100EEvPKT0_PKjPS4_
    .private_segment_fixed_size: 0
    .sgpr_count:     8
    .sgpr_spill_count: 0
    .symbol:         _Z6kernelI23warp_striped_to_blockedN15benchmark_utils11custom_typeIffEELj256ELj4ELj100EEvPKT0_PKjPS4_.kd
    .uniform_work_group_size: 1
    .uses_dynamic_stack: false
    .vgpr_count:     18
    .vgpr_spill_count: 0
    .wavefront_size: 32
  - .args:
      - .address_space:  global
        .offset:         0
        .size:           8
        .value_kind:     global_buffer
      - .address_space:  global
        .offset:         8
        .size:           8
        .value_kind:     global_buffer
      - .address_space:  global
        .offset:         16
        .size:           8
        .value_kind:     global_buffer
    .group_segment_fixed_size: 14336
    .kernarg_segment_align: 8
    .kernarg_segment_size: 24
    .language:       OpenCL C
    .language_version:
      - 2
      - 0
    .max_flat_workgroup_size: 256
    .name:           _Z6kernelI23warp_striped_to_blockedN15benchmark_utils11custom_typeIffEELj256ELj7ELj100EEvPKT0_PKjPS4_
    .private_segment_fixed_size: 0
    .sgpr_count:     8
    .sgpr_spill_count: 0
    .symbol:         _Z6kernelI23warp_striped_to_blockedN15benchmark_utils11custom_typeIffEELj256ELj7ELj100EEvPKT0_PKjPS4_.kd
    .uniform_work_group_size: 1
    .uses_dynamic_stack: false
    .vgpr_count:     21
    .vgpr_spill_count: 0
    .wavefront_size: 32
  - .args:
      - .address_space:  global
        .offset:         0
        .size:           8
        .value_kind:     global_buffer
      - .address_space:  global
        .offset:         8
        .size:           8
        .value_kind:     global_buffer
      - .address_space:  global
        .offset:         16
        .size:           8
        .value_kind:     global_buffer
    .group_segment_fixed_size: 16896
    .kernarg_segment_align: 8
    .kernarg_segment_size: 24
    .language:       OpenCL C
    .language_version:
      - 2
      - 0
    .max_flat_workgroup_size: 256
    .name:           _Z6kernelI23warp_striped_to_blockedN15benchmark_utils11custom_typeIffEELj256ELj8ELj100EEvPKT0_PKjPS4_
    .private_segment_fixed_size: 0
    .sgpr_count:     8
    .sgpr_spill_count: 0
    .symbol:         _Z6kernelI23warp_striped_to_blockedN15benchmark_utils11custom_typeIffEELj256ELj8ELj100EEvPKT0_PKjPS4_.kd
    .uniform_work_group_size: 1
    .uses_dynamic_stack: false
    .vgpr_count:     29
    .vgpr_spill_count: 0
    .wavefront_size: 32
  - .args:
      - .address_space:  global
        .offset:         0
        .size:           8
        .value_kind:     global_buffer
      - .address_space:  global
        .offset:         8
        .size:           8
        .value_kind:     global_buffer
      - .address_space:  global
        .offset:         16
        .size:           8
        .value_kind:     global_buffer
    .group_segment_fixed_size: 4096
    .kernarg_segment_align: 8
    .kernarg_segment_size: 24
    .language:       OpenCL C
    .language_version:
      - 2
      - 0
    .max_flat_workgroup_size: 256
    .name:           _Z6kernelI23warp_striped_to_blockedN15benchmark_utils11custom_typeIddEELj256ELj1ELj100EEvPKT0_PKjPS4_
    .private_segment_fixed_size: 0
    .sgpr_count:     7
    .sgpr_spill_count: 0
    .symbol:         _Z6kernelI23warp_striped_to_blockedN15benchmark_utils11custom_typeIddEELj256ELj1ELj100EEvPKT0_PKjPS4_.kd
    .uniform_work_group_size: 1
    .uses_dynamic_stack: false
    .vgpr_count:     10
    .vgpr_spill_count: 0
    .wavefront_size: 32
  - .args:
      - .address_space:  global
        .offset:         0
        .size:           8
        .value_kind:     global_buffer
      - .address_space:  global
        .offset:         8
        .size:           8
        .value_kind:     global_buffer
      - .address_space:  global
        .offset:         16
        .size:           8
        .value_kind:     global_buffer
    .group_segment_fixed_size: 8448
    .kernarg_segment_align: 8
    .kernarg_segment_size: 24
    .language:       OpenCL C
    .language_version:
      - 2
      - 0
    .max_flat_workgroup_size: 256
    .name:           _Z6kernelI23warp_striped_to_blockedN15benchmark_utils11custom_typeIddEELj256ELj2ELj100EEvPKT0_PKjPS4_
    .private_segment_fixed_size: 0
    .sgpr_count:     8
    .sgpr_spill_count: 0
    .symbol:         _Z6kernelI23warp_striped_to_blockedN15benchmark_utils11custom_typeIddEELj256ELj2ELj100EEvPKT0_PKjPS4_.kd
    .uniform_work_group_size: 1
    .uses_dynamic_stack: false
    .vgpr_count:     15
    .vgpr_spill_count: 0
    .wavefront_size: 32
  - .args:
      - .address_space:  global
        .offset:         0
        .size:           8
        .value_kind:     global_buffer
      - .address_space:  global
        .offset:         8
        .size:           8
        .value_kind:     global_buffer
      - .address_space:  global
        .offset:         16
        .size:           8
        .value_kind:     global_buffer
    .group_segment_fixed_size: 12288
    .kernarg_segment_align: 8
    .kernarg_segment_size: 24
    .language:       OpenCL C
    .language_version:
      - 2
      - 0
    .max_flat_workgroup_size: 256
    .name:           _Z6kernelI23warp_striped_to_blockedN15benchmark_utils11custom_typeIddEELj256ELj3ELj100EEvPKT0_PKjPS4_
    .private_segment_fixed_size: 0
    .sgpr_count:     8
    .sgpr_spill_count: 0
    .symbol:         _Z6kernelI23warp_striped_to_blockedN15benchmark_utils11custom_typeIddEELj256ELj3ELj100EEvPKT0_PKjPS4_.kd
    .uniform_work_group_size: 1
    .uses_dynamic_stack: false
    .vgpr_count:     19
    .vgpr_spill_count: 0
    .wavefront_size: 32
  - .args:
      - .address_space:  global
        .offset:         0
        .size:           8
        .value_kind:     global_buffer
      - .address_space:  global
        .offset:         8
        .size:           8
        .value_kind:     global_buffer
      - .address_space:  global
        .offset:         16
        .size:           8
        .value_kind:     global_buffer
    .group_segment_fixed_size: 16896
    .kernarg_segment_align: 8
    .kernarg_segment_size: 24
    .language:       OpenCL C
    .language_version:
      - 2
      - 0
    .max_flat_workgroup_size: 256
    .name:           _Z6kernelI23warp_striped_to_blockedN15benchmark_utils11custom_typeIddEELj256ELj4ELj100EEvPKT0_PKjPS4_
    .private_segment_fixed_size: 0
    .sgpr_count:     8
    .sgpr_spill_count: 0
    .symbol:         _Z6kernelI23warp_striped_to_blockedN15benchmark_utils11custom_typeIddEELj256ELj4ELj100EEvPKT0_PKjPS4_.kd
    .uniform_work_group_size: 1
    .uses_dynamic_stack: false
    .vgpr_count:     25
    .vgpr_spill_count: 0
    .wavefront_size: 32
  - .args:
      - .address_space:  global
        .offset:         0
        .size:           8
        .value_kind:     global_buffer
      - .address_space:  global
        .offset:         8
        .size:           8
        .value_kind:     global_buffer
      - .address_space:  global
        .offset:         16
        .size:           8
        .value_kind:     global_buffer
    .group_segment_fixed_size: 28672
    .kernarg_segment_align: 8
    .kernarg_segment_size: 24
    .language:       OpenCL C
    .language_version:
      - 2
      - 0
    .max_flat_workgroup_size: 256
    .name:           _Z6kernelI23warp_striped_to_blockedN15benchmark_utils11custom_typeIddEELj256ELj7ELj100EEvPKT0_PKjPS4_
    .private_segment_fixed_size: 0
    .sgpr_count:     8
    .sgpr_spill_count: 0
    .symbol:         _Z6kernelI23warp_striped_to_blockedN15benchmark_utils11custom_typeIddEELj256ELj7ELj100EEvPKT0_PKjPS4_.kd
    .uniform_work_group_size: 1
    .uses_dynamic_stack: false
    .vgpr_count:     35
    .vgpr_spill_count: 0
    .wavefront_size: 32
  - .args:
      - .address_space:  global
        .offset:         0
        .size:           8
        .value_kind:     global_buffer
      - .address_space:  global
        .offset:         8
        .size:           8
        .value_kind:     global_buffer
      - .address_space:  global
        .offset:         16
        .size:           8
        .value_kind:     global_buffer
    .group_segment_fixed_size: 33792
    .kernarg_segment_align: 8
    .kernarg_segment_size: 24
    .language:       OpenCL C
    .language_version:
      - 2
      - 0
    .max_flat_workgroup_size: 256
    .name:           _Z6kernelI23warp_striped_to_blockedN15benchmark_utils11custom_typeIddEELj256ELj8ELj100EEvPKT0_PKjPS4_
    .private_segment_fixed_size: 0
    .sgpr_count:     8
    .sgpr_spill_count: 0
    .symbol:         _Z6kernelI23warp_striped_to_blockedN15benchmark_utils11custom_typeIddEELj256ELj8ELj100EEvPKT0_PKjPS4_.kd
    .uniform_work_group_size: 1
    .uses_dynamic_stack: false
    .vgpr_count:     45
    .vgpr_spill_count: 0
    .wavefront_size: 32
  - .args:
      - .address_space:  global
        .offset:         0
        .size:           8
        .value_kind:     global_buffer
      - .address_space:  global
        .offset:         8
        .size:           8
        .value_kind:     global_buffer
      - .address_space:  global
        .offset:         16
        .size:           8
        .value_kind:     global_buffer
    .group_segment_fixed_size: 1024
    .kernarg_segment_align: 8
    .kernarg_segment_size: 24
    .language:       OpenCL C
    .language_version:
      - 2
      - 0
    .max_flat_workgroup_size: 256
    .name:           _Z6kernelI18scatter_to_blockediLj256ELj1ELj100EEvPKT0_PKjPS1_
    .private_segment_fixed_size: 0
    .sgpr_count:     9
    .sgpr_spill_count: 0
    .symbol:         _Z6kernelI18scatter_to_blockediLj256ELj1ELj100EEvPKT0_PKjPS1_.kd
    .uniform_work_group_size: 1
    .uses_dynamic_stack: false
    .vgpr_count:     4
    .vgpr_spill_count: 0
    .wavefront_size: 32
  - .args:
      - .address_space:  global
        .offset:         0
        .size:           8
        .value_kind:     global_buffer
      - .address_space:  global
        .offset:         8
        .size:           8
        .value_kind:     global_buffer
      - .address_space:  global
        .offset:         16
        .size:           8
        .value_kind:     global_buffer
    .group_segment_fixed_size: 2112
    .kernarg_segment_align: 8
    .kernarg_segment_size: 24
    .language:       OpenCL C
    .language_version:
      - 2
      - 0
    .max_flat_workgroup_size: 256
    .name:           _Z6kernelI18scatter_to_blockediLj256ELj2ELj100EEvPKT0_PKjPS1_
    .private_segment_fixed_size: 0
    .sgpr_count:     9
    .sgpr_spill_count: 0
    .symbol:         _Z6kernelI18scatter_to_blockediLj256ELj2ELj100EEvPKT0_PKjPS1_.kd
    .uniform_work_group_size: 1
    .uses_dynamic_stack: false
    .vgpr_count:     9
    .vgpr_spill_count: 0
    .wavefront_size: 32
  - .args:
      - .address_space:  global
        .offset:         0
        .size:           8
        .value_kind:     global_buffer
      - .address_space:  global
        .offset:         8
        .size:           8
        .value_kind:     global_buffer
      - .address_space:  global
        .offset:         16
        .size:           8
        .value_kind:     global_buffer
    .group_segment_fixed_size: 3072
    .kernarg_segment_align: 8
    .kernarg_segment_size: 24
    .language:       OpenCL C
    .language_version:
      - 2
      - 0
    .max_flat_workgroup_size: 256
    .name:           _Z6kernelI18scatter_to_blockediLj256ELj3ELj100EEvPKT0_PKjPS1_
    .private_segment_fixed_size: 0
    .sgpr_count:     9
    .sgpr_spill_count: 0
    .symbol:         _Z6kernelI18scatter_to_blockediLj256ELj3ELj100EEvPKT0_PKjPS1_.kd
    .uniform_work_group_size: 1
    .uses_dynamic_stack: false
    .vgpr_count:     7
    .vgpr_spill_count: 0
    .wavefront_size: 32
  - .args:
      - .address_space:  global
        .offset:         0
        .size:           8
        .value_kind:     global_buffer
      - .address_space:  global
        .offset:         8
        .size:           8
        .value_kind:     global_buffer
      - .address_space:  global
        .offset:         16
        .size:           8
        .value_kind:     global_buffer
    .group_segment_fixed_size: 4224
    .kernarg_segment_align: 8
    .kernarg_segment_size: 24
    .language:       OpenCL C
    .language_version:
      - 2
      - 0
    .max_flat_workgroup_size: 256
    .name:           _Z6kernelI18scatter_to_blockediLj256ELj4ELj100EEvPKT0_PKjPS1_
    .private_segment_fixed_size: 0
    .sgpr_count:     9
    .sgpr_spill_count: 0
    .symbol:         _Z6kernelI18scatter_to_blockediLj256ELj4ELj100EEvPKT0_PKjPS1_.kd
    .uniform_work_group_size: 1
    .uses_dynamic_stack: false
    .vgpr_count:     15
    .vgpr_spill_count: 0
    .wavefront_size: 32
  - .args:
      - .address_space:  global
        .offset:         0
        .size:           8
        .value_kind:     global_buffer
      - .address_space:  global
        .offset:         8
        .size:           8
        .value_kind:     global_buffer
      - .address_space:  global
        .offset:         16
        .size:           8
        .value_kind:     global_buffer
    .group_segment_fixed_size: 7168
    .kernarg_segment_align: 8
    .kernarg_segment_size: 24
    .language:       OpenCL C
    .language_version:
      - 2
      - 0
    .max_flat_workgroup_size: 256
    .name:           _Z6kernelI18scatter_to_blockediLj256ELj7ELj100EEvPKT0_PKjPS1_
    .private_segment_fixed_size: 0
    .sgpr_count:     9
    .sgpr_spill_count: 0
    .symbol:         _Z6kernelI18scatter_to_blockediLj256ELj7ELj100EEvPKT0_PKjPS1_.kd
    .uniform_work_group_size: 1
    .uses_dynamic_stack: false
    .vgpr_count:     15
    .vgpr_spill_count: 0
    .wavefront_size: 32
  - .args:
      - .address_space:  global
        .offset:         0
        .size:           8
        .value_kind:     global_buffer
      - .address_space:  global
        .offset:         8
        .size:           8
        .value_kind:     global_buffer
      - .address_space:  global
        .offset:         16
        .size:           8
        .value_kind:     global_buffer
    .group_segment_fixed_size: 8448
    .kernarg_segment_align: 8
    .kernarg_segment_size: 24
    .language:       OpenCL C
    .language_version:
      - 2
      - 0
    .max_flat_workgroup_size: 256
    .name:           _Z6kernelI18scatter_to_blockediLj256ELj8ELj100EEvPKT0_PKjPS1_
    .private_segment_fixed_size: 0
    .sgpr_count:     9
    .sgpr_spill_count: 0
    .symbol:         _Z6kernelI18scatter_to_blockediLj256ELj8ELj100EEvPKT0_PKjPS1_.kd
    .uniform_work_group_size: 1
    .uses_dynamic_stack: false
    .vgpr_count:     27
    .vgpr_spill_count: 0
    .wavefront_size: 32
  - .args:
      - .address_space:  global
        .offset:         0
        .size:           8
        .value_kind:     global_buffer
      - .address_space:  global
        .offset:         8
        .size:           8
        .value_kind:     global_buffer
      - .address_space:  global
        .offset:         16
        .size:           8
        .value_kind:     global_buffer
    .group_segment_fixed_size: 256
    .kernarg_segment_align: 8
    .kernarg_segment_size: 24
    .language:       OpenCL C
    .language_version:
      - 2
      - 0
    .max_flat_workgroup_size: 256
    .name:           _Z6kernelI18scatter_to_blockedaLj256ELj1ELj100EEvPKT0_PKjPS1_
    .private_segment_fixed_size: 0
    .sgpr_count:     10
    .sgpr_spill_count: 0
    .symbol:         _Z6kernelI18scatter_to_blockedaLj256ELj1ELj100EEvPKT0_PKjPS1_.kd
    .uniform_work_group_size: 1
    .uses_dynamic_stack: false
    .vgpr_count:     4
    .vgpr_spill_count: 0
    .wavefront_size: 32
  - .args:
      - .address_space:  global
        .offset:         0
        .size:           8
        .value_kind:     global_buffer
      - .address_space:  global
        .offset:         8
        .size:           8
        .value_kind:     global_buffer
      - .address_space:  global
        .offset:         16
        .size:           8
        .value_kind:     global_buffer
    .group_segment_fixed_size: 528
    .kernarg_segment_align: 8
    .kernarg_segment_size: 24
    .language:       OpenCL C
    .language_version:
      - 2
      - 0
    .max_flat_workgroup_size: 256
    .name:           _Z6kernelI18scatter_to_blockedaLj256ELj2ELj100EEvPKT0_PKjPS1_
    .private_segment_fixed_size: 0
    .sgpr_count:     10
    .sgpr_spill_count: 0
    .symbol:         _Z6kernelI18scatter_to_blockedaLj256ELj2ELj100EEvPKT0_PKjPS1_.kd
    .uniform_work_group_size: 1
    .uses_dynamic_stack: false
    .vgpr_count:     8
    .vgpr_spill_count: 0
    .wavefront_size: 32
  - .args:
      - .address_space:  global
        .offset:         0
        .size:           8
        .value_kind:     global_buffer
      - .address_space:  global
        .offset:         8
        .size:           8
        .value_kind:     global_buffer
      - .address_space:  global
        .offset:         16
        .size:           8
        .value_kind:     global_buffer
    .group_segment_fixed_size: 768
    .kernarg_segment_align: 8
    .kernarg_segment_size: 24
    .language:       OpenCL C
    .language_version:
      - 2
      - 0
    .max_flat_workgroup_size: 256
    .name:           _Z6kernelI18scatter_to_blockedaLj256ELj3ELj100EEvPKT0_PKjPS1_
    .private_segment_fixed_size: 0
    .sgpr_count:     10
    .sgpr_spill_count: 0
    .symbol:         _Z6kernelI18scatter_to_blockedaLj256ELj3ELj100EEvPKT0_PKjPS1_.kd
    .uniform_work_group_size: 1
    .uses_dynamic_stack: false
    .vgpr_count:     9
    .vgpr_spill_count: 0
    .wavefront_size: 32
  - .args:
      - .address_space:  global
        .offset:         0
        .size:           8
        .value_kind:     global_buffer
      - .address_space:  global
        .offset:         8
        .size:           8
        .value_kind:     global_buffer
      - .address_space:  global
        .offset:         16
        .size:           8
        .value_kind:     global_buffer
    .group_segment_fixed_size: 1056
    .kernarg_segment_align: 8
    .kernarg_segment_size: 24
    .language:       OpenCL C
    .language_version:
      - 2
      - 0
    .max_flat_workgroup_size: 256
    .name:           _Z6kernelI18scatter_to_blockedaLj256ELj4ELj100EEvPKT0_PKjPS1_
    .private_segment_fixed_size: 0
    .sgpr_count:     10
    .sgpr_spill_count: 0
    .symbol:         _Z6kernelI18scatter_to_blockedaLj256ELj4ELj100EEvPKT0_PKjPS1_.kd
    .uniform_work_group_size: 1
    .uses_dynamic_stack: false
    .vgpr_count:     13
    .vgpr_spill_count: 0
    .wavefront_size: 32
  - .args:
      - .address_space:  global
        .offset:         0
        .size:           8
        .value_kind:     global_buffer
      - .address_space:  global
        .offset:         8
        .size:           8
        .value_kind:     global_buffer
      - .address_space:  global
        .offset:         16
        .size:           8
        .value_kind:     global_buffer
    .group_segment_fixed_size: 1792
    .kernarg_segment_align: 8
    .kernarg_segment_size: 24
    .language:       OpenCL C
    .language_version:
      - 2
      - 0
    .max_flat_workgroup_size: 256
    .name:           _Z6kernelI18scatter_to_blockedaLj256ELj7ELj100EEvPKT0_PKjPS1_
    .private_segment_fixed_size: 0
    .sgpr_count:     10
    .sgpr_spill_count: 0
    .symbol:         _Z6kernelI18scatter_to_blockedaLj256ELj7ELj100EEvPKT0_PKjPS1_.kd
    .uniform_work_group_size: 1
    .uses_dynamic_stack: false
    .vgpr_count:     15
    .vgpr_spill_count: 0
    .wavefront_size: 32
  - .args:
      - .address_space:  global
        .offset:         0
        .size:           8
        .value_kind:     global_buffer
      - .address_space:  global
        .offset:         8
        .size:           8
        .value_kind:     global_buffer
      - .address_space:  global
        .offset:         16
        .size:           8
        .value_kind:     global_buffer
    .group_segment_fixed_size: 2112
    .kernarg_segment_align: 8
    .kernarg_segment_size: 24
    .language:       OpenCL C
    .language_version:
      - 2
      - 0
    .max_flat_workgroup_size: 256
    .name:           _Z6kernelI18scatter_to_blockedaLj256ELj8ELj100EEvPKT0_PKjPS1_
    .private_segment_fixed_size: 0
    .sgpr_count:     10
    .sgpr_spill_count: 0
    .symbol:         _Z6kernelI18scatter_to_blockedaLj256ELj8ELj100EEvPKT0_PKjPS1_.kd
    .uniform_work_group_size: 1
    .uses_dynamic_stack: false
    .vgpr_count:     26
    .vgpr_spill_count: 0
    .wavefront_size: 32
  - .args:
      - .address_space:  global
        .offset:         0
        .size:           8
        .value_kind:     global_buffer
      - .address_space:  global
        .offset:         8
        .size:           8
        .value_kind:     global_buffer
      - .address_space:  global
        .offset:         16
        .size:           8
        .value_kind:     global_buffer
    .group_segment_fixed_size: 2048
    .kernarg_segment_align: 8
    .kernarg_segment_size: 24
    .language:       OpenCL C
    .language_version:
      - 2
      - 0
    .max_flat_workgroup_size: 256
    .name:           _Z6kernelI18scatter_to_blockedxLj256ELj1ELj100EEvPKT0_PKjPS1_
    .private_segment_fixed_size: 0
    .sgpr_count:     10
    .sgpr_spill_count: 0
    .symbol:         _Z6kernelI18scatter_to_blockedxLj256ELj1ELj100EEvPKT0_PKjPS1_.kd
    .uniform_work_group_size: 1
    .uses_dynamic_stack: false
    .vgpr_count:     5
    .vgpr_spill_count: 0
    .wavefront_size: 32
  - .args:
      - .address_space:  global
        .offset:         0
        .size:           8
        .value_kind:     global_buffer
      - .address_space:  global
        .offset:         8
        .size:           8
        .value_kind:     global_buffer
      - .address_space:  global
        .offset:         16
        .size:           8
        .value_kind:     global_buffer
    .group_segment_fixed_size: 4224
    .kernarg_segment_align: 8
    .kernarg_segment_size: 24
    .language:       OpenCL C
    .language_version:
      - 2
      - 0
    .max_flat_workgroup_size: 256
    .name:           _Z6kernelI18scatter_to_blockedxLj256ELj2ELj100EEvPKT0_PKjPS1_
    .private_segment_fixed_size: 0
    .sgpr_count:     10
    .sgpr_spill_count: 0
    .symbol:         _Z6kernelI18scatter_to_blockedxLj256ELj2ELj100EEvPKT0_PKjPS1_.kd
    .uniform_work_group_size: 1
    .uses_dynamic_stack: false
    .vgpr_count:     11
    .vgpr_spill_count: 0
    .wavefront_size: 32
  - .args:
      - .address_space:  global
        .offset:         0
        .size:           8
        .value_kind:     global_buffer
      - .address_space:  global
        .offset:         8
        .size:           8
        .value_kind:     global_buffer
      - .address_space:  global
        .offset:         16
        .size:           8
        .value_kind:     global_buffer
    .group_segment_fixed_size: 6144
    .kernarg_segment_align: 8
    .kernarg_segment_size: 24
    .language:       OpenCL C
    .language_version:
      - 2
      - 0
    .max_flat_workgroup_size: 256
    .name:           _Z6kernelI18scatter_to_blockedxLj256ELj3ELj100EEvPKT0_PKjPS1_
    .private_segment_fixed_size: 0
    .sgpr_count:     10
    .sgpr_spill_count: 0
    .symbol:         _Z6kernelI18scatter_to_blockedxLj256ELj3ELj100EEvPKT0_PKjPS1_.kd
    .uniform_work_group_size: 1
    .uses_dynamic_stack: false
    .vgpr_count:     11
    .vgpr_spill_count: 0
    .wavefront_size: 32
  - .args:
      - .address_space:  global
        .offset:         0
        .size:           8
        .value_kind:     global_buffer
      - .address_space:  global
        .offset:         8
        .size:           8
        .value_kind:     global_buffer
      - .address_space:  global
        .offset:         16
        .size:           8
        .value_kind:     global_buffer
    .group_segment_fixed_size: 8448
    .kernarg_segment_align: 8
    .kernarg_segment_size: 24
    .language:       OpenCL C
    .language_version:
      - 2
      - 0
    .max_flat_workgroup_size: 256
    .name:           _Z6kernelI18scatter_to_blockedxLj256ELj4ELj100EEvPKT0_PKjPS1_
    .private_segment_fixed_size: 0
    .sgpr_count:     10
    .sgpr_spill_count: 0
    .symbol:         _Z6kernelI18scatter_to_blockedxLj256ELj4ELj100EEvPKT0_PKjPS1_.kd
    .uniform_work_group_size: 1
    .uses_dynamic_stack: false
    .vgpr_count:     19
    .vgpr_spill_count: 0
    .wavefront_size: 32
  - .args:
      - .address_space:  global
        .offset:         0
        .size:           8
        .value_kind:     global_buffer
      - .address_space:  global
        .offset:         8
        .size:           8
        .value_kind:     global_buffer
      - .address_space:  global
        .offset:         16
        .size:           8
        .value_kind:     global_buffer
    .group_segment_fixed_size: 14336
    .kernarg_segment_align: 8
    .kernarg_segment_size: 24
    .language:       OpenCL C
    .language_version:
      - 2
      - 0
    .max_flat_workgroup_size: 256
    .name:           _Z6kernelI18scatter_to_blockedxLj256ELj7ELj100EEvPKT0_PKjPS1_
    .private_segment_fixed_size: 0
    .sgpr_count:     10
    .sgpr_spill_count: 0
    .symbol:         _Z6kernelI18scatter_to_blockedxLj256ELj7ELj100EEvPKT0_PKjPS1_.kd
    .uniform_work_group_size: 1
    .uses_dynamic_stack: false
    .vgpr_count:     23
    .vgpr_spill_count: 0
    .wavefront_size: 32
  - .args:
      - .address_space:  global
        .offset:         0
        .size:           8
        .value_kind:     global_buffer
      - .address_space:  global
        .offset:         8
        .size:           8
        .value_kind:     global_buffer
      - .address_space:  global
        .offset:         16
        .size:           8
        .value_kind:     global_buffer
    .group_segment_fixed_size: 16896
    .kernarg_segment_align: 8
    .kernarg_segment_size: 24
    .language:       OpenCL C
    .language_version:
      - 2
      - 0
    .max_flat_workgroup_size: 256
    .name:           _Z6kernelI18scatter_to_blockedxLj256ELj8ELj100EEvPKT0_PKjPS1_
    .private_segment_fixed_size: 0
    .sgpr_count:     10
    .sgpr_spill_count: 0
    .symbol:         _Z6kernelI18scatter_to_blockedxLj256ELj8ELj100EEvPKT0_PKjPS1_.kd
    .uniform_work_group_size: 1
    .uses_dynamic_stack: false
    .vgpr_count:     35
    .vgpr_spill_count: 0
    .wavefront_size: 32
  - .args:
      - .address_space:  global
        .offset:         0
        .size:           8
        .value_kind:     global_buffer
      - .address_space:  global
        .offset:         8
        .size:           8
        .value_kind:     global_buffer
      - .address_space:  global
        .offset:         16
        .size:           8
        .value_kind:     global_buffer
    .group_segment_fixed_size: 2048
    .kernarg_segment_align: 8
    .kernarg_segment_size: 24
    .language:       OpenCL C
    .language_version:
      - 2
      - 0
    .max_flat_workgroup_size: 256
    .name:           _Z6kernelI18scatter_to_blockedN15benchmark_utils11custom_typeIffEELj256ELj1ELj100EEvPKT0_PKjPS4_
    .private_segment_fixed_size: 0
    .sgpr_count:     10
    .sgpr_spill_count: 0
    .symbol:         _Z6kernelI18scatter_to_blockedN15benchmark_utils11custom_typeIffEELj256ELj1ELj100EEvPKT0_PKjPS4_.kd
    .uniform_work_group_size: 1
    .uses_dynamic_stack: false
    .vgpr_count:     5
    .vgpr_spill_count: 0
    .wavefront_size: 32
  - .args:
      - .address_space:  global
        .offset:         0
        .size:           8
        .value_kind:     global_buffer
      - .address_space:  global
        .offset:         8
        .size:           8
        .value_kind:     global_buffer
      - .address_space:  global
        .offset:         16
        .size:           8
        .value_kind:     global_buffer
    .group_segment_fixed_size: 4224
    .kernarg_segment_align: 8
    .kernarg_segment_size: 24
    .language:       OpenCL C
    .language_version:
      - 2
      - 0
    .max_flat_workgroup_size: 256
    .name:           _Z6kernelI18scatter_to_blockedN15benchmark_utils11custom_typeIffEELj256ELj2ELj100EEvPKT0_PKjPS4_
    .private_segment_fixed_size: 0
    .sgpr_count:     10
    .sgpr_spill_count: 0
    .symbol:         _Z6kernelI18scatter_to_blockedN15benchmark_utils11custom_typeIffEELj256ELj2ELj100EEvPKT0_PKjPS4_.kd
    .uniform_work_group_size: 1
    .uses_dynamic_stack: false
    .vgpr_count:     11
    .vgpr_spill_count: 0
    .wavefront_size: 32
  - .args:
      - .address_space:  global
        .offset:         0
        .size:           8
        .value_kind:     global_buffer
      - .address_space:  global
        .offset:         8
        .size:           8
        .value_kind:     global_buffer
      - .address_space:  global
        .offset:         16
        .size:           8
        .value_kind:     global_buffer
    .group_segment_fixed_size: 6144
    .kernarg_segment_align: 8
    .kernarg_segment_size: 24
    .language:       OpenCL C
    .language_version:
      - 2
      - 0
    .max_flat_workgroup_size: 256
    .name:           _Z6kernelI18scatter_to_blockedN15benchmark_utils11custom_typeIffEELj256ELj3ELj100EEvPKT0_PKjPS4_
    .private_segment_fixed_size: 0
    .sgpr_count:     10
    .sgpr_spill_count: 0
    .symbol:         _Z6kernelI18scatter_to_blockedN15benchmark_utils11custom_typeIffEELj256ELj3ELj100EEvPKT0_PKjPS4_.kd
    .uniform_work_group_size: 1
    .uses_dynamic_stack: false
    .vgpr_count:     11
    .vgpr_spill_count: 0
    .wavefront_size: 32
  - .args:
      - .address_space:  global
        .offset:         0
        .size:           8
        .value_kind:     global_buffer
      - .address_space:  global
        .offset:         8
        .size:           8
        .value_kind:     global_buffer
      - .address_space:  global
        .offset:         16
        .size:           8
        .value_kind:     global_buffer
    .group_segment_fixed_size: 8448
    .kernarg_segment_align: 8
    .kernarg_segment_size: 24
    .language:       OpenCL C
    .language_version:
      - 2
      - 0
    .max_flat_workgroup_size: 256
    .name:           _Z6kernelI18scatter_to_blockedN15benchmark_utils11custom_typeIffEELj256ELj4ELj100EEvPKT0_PKjPS4_
    .private_segment_fixed_size: 0
    .sgpr_count:     10
    .sgpr_spill_count: 0
    .symbol:         _Z6kernelI18scatter_to_blockedN15benchmark_utils11custom_typeIffEELj256ELj4ELj100EEvPKT0_PKjPS4_.kd
    .uniform_work_group_size: 1
    .uses_dynamic_stack: false
    .vgpr_count:     19
    .vgpr_spill_count: 0
    .wavefront_size: 32
  - .args:
      - .address_space:  global
        .offset:         0
        .size:           8
        .value_kind:     global_buffer
      - .address_space:  global
        .offset:         8
        .size:           8
        .value_kind:     global_buffer
      - .address_space:  global
        .offset:         16
        .size:           8
        .value_kind:     global_buffer
    .group_segment_fixed_size: 14336
    .kernarg_segment_align: 8
    .kernarg_segment_size: 24
    .language:       OpenCL C
    .language_version:
      - 2
      - 0
    .max_flat_workgroup_size: 256
    .name:           _Z6kernelI18scatter_to_blockedN15benchmark_utils11custom_typeIffEELj256ELj7ELj100EEvPKT0_PKjPS4_
    .private_segment_fixed_size: 0
    .sgpr_count:     10
    .sgpr_spill_count: 0
    .symbol:         _Z6kernelI18scatter_to_blockedN15benchmark_utils11custom_typeIffEELj256ELj7ELj100EEvPKT0_PKjPS4_.kd
    .uniform_work_group_size: 1
    .uses_dynamic_stack: false
    .vgpr_count:     23
    .vgpr_spill_count: 0
    .wavefront_size: 32
  - .args:
      - .address_space:  global
        .offset:         0
        .size:           8
        .value_kind:     global_buffer
      - .address_space:  global
        .offset:         8
        .size:           8
        .value_kind:     global_buffer
      - .address_space:  global
        .offset:         16
        .size:           8
        .value_kind:     global_buffer
    .group_segment_fixed_size: 16896
    .kernarg_segment_align: 8
    .kernarg_segment_size: 24
    .language:       OpenCL C
    .language_version:
      - 2
      - 0
    .max_flat_workgroup_size: 256
    .name:           _Z6kernelI18scatter_to_blockedN15benchmark_utils11custom_typeIffEELj256ELj8ELj100EEvPKT0_PKjPS4_
    .private_segment_fixed_size: 0
    .sgpr_count:     10
    .sgpr_spill_count: 0
    .symbol:         _Z6kernelI18scatter_to_blockedN15benchmark_utils11custom_typeIffEELj256ELj8ELj100EEvPKT0_PKjPS4_.kd
    .uniform_work_group_size: 1
    .uses_dynamic_stack: false
    .vgpr_count:     35
    .vgpr_spill_count: 0
    .wavefront_size: 32
  - .args:
      - .address_space:  global
        .offset:         0
        .size:           8
        .value_kind:     global_buffer
      - .address_space:  global
        .offset:         8
        .size:           8
        .value_kind:     global_buffer
      - .address_space:  global
        .offset:         16
        .size:           8
        .value_kind:     global_buffer
    .group_segment_fixed_size: 4096
    .kernarg_segment_align: 8
    .kernarg_segment_size: 24
    .language:       OpenCL C
    .language_version:
      - 2
      - 0
    .max_flat_workgroup_size: 256
    .name:           _Z6kernelI18scatter_to_blockedN15benchmark_utils11custom_typeIddEELj256ELj1ELj100EEvPKT0_PKjPS4_
    .private_segment_fixed_size: 0
    .sgpr_count:     10
    .sgpr_spill_count: 0
    .symbol:         _Z6kernelI18scatter_to_blockedN15benchmark_utils11custom_typeIddEELj256ELj1ELj100EEvPKT0_PKjPS4_.kd
    .uniform_work_group_size: 1
    .uses_dynamic_stack: false
    .vgpr_count:     7
    .vgpr_spill_count: 0
    .wavefront_size: 32
  - .args:
      - .address_space:  global
        .offset:         0
        .size:           8
        .value_kind:     global_buffer
      - .address_space:  global
        .offset:         8
        .size:           8
        .value_kind:     global_buffer
      - .address_space:  global
        .offset:         16
        .size:           8
        .value_kind:     global_buffer
    .group_segment_fixed_size: 8448
    .kernarg_segment_align: 8
    .kernarg_segment_size: 24
    .language:       OpenCL C
    .language_version:
      - 2
      - 0
    .max_flat_workgroup_size: 256
    .name:           _Z6kernelI18scatter_to_blockedN15benchmark_utils11custom_typeIddEELj256ELj2ELj100EEvPKT0_PKjPS4_
    .private_segment_fixed_size: 0
    .sgpr_count:     10
    .sgpr_spill_count: 0
    .symbol:         _Z6kernelI18scatter_to_blockedN15benchmark_utils11custom_typeIddEELj256ELj2ELj100EEvPKT0_PKjPS4_.kd
    .uniform_work_group_size: 1
    .uses_dynamic_stack: false
    .vgpr_count:     15
    .vgpr_spill_count: 0
    .wavefront_size: 32
  - .args:
      - .address_space:  global
        .offset:         0
        .size:           8
        .value_kind:     global_buffer
      - .address_space:  global
        .offset:         8
        .size:           8
        .value_kind:     global_buffer
      - .address_space:  global
        .offset:         16
        .size:           8
        .value_kind:     global_buffer
    .group_segment_fixed_size: 12288
    .kernarg_segment_align: 8
    .kernarg_segment_size: 24
    .language:       OpenCL C
    .language_version:
      - 2
      - 0
    .max_flat_workgroup_size: 256
    .name:           _Z6kernelI18scatter_to_blockedN15benchmark_utils11custom_typeIddEELj256ELj3ELj100EEvPKT0_PKjPS4_
    .private_segment_fixed_size: 0
    .sgpr_count:     10
    .sgpr_spill_count: 0
    .symbol:         _Z6kernelI18scatter_to_blockedN15benchmark_utils11custom_typeIddEELj256ELj3ELj100EEvPKT0_PKjPS4_.kd
    .uniform_work_group_size: 1
    .uses_dynamic_stack: false
    .vgpr_count:     17
    .vgpr_spill_count: 0
    .wavefront_size: 32
  - .args:
      - .address_space:  global
        .offset:         0
        .size:           8
        .value_kind:     global_buffer
      - .address_space:  global
        .offset:         8
        .size:           8
        .value_kind:     global_buffer
      - .address_space:  global
        .offset:         16
        .size:           8
        .value_kind:     global_buffer
    .group_segment_fixed_size: 16896
    .kernarg_segment_align: 8
    .kernarg_segment_size: 24
    .language:       OpenCL C
    .language_version:
      - 2
      - 0
    .max_flat_workgroup_size: 256
    .name:           _Z6kernelI18scatter_to_blockedN15benchmark_utils11custom_typeIddEELj256ELj4ELj100EEvPKT0_PKjPS4_
    .private_segment_fixed_size: 0
    .sgpr_count:     10
    .sgpr_spill_count: 0
    .symbol:         _Z6kernelI18scatter_to_blockedN15benchmark_utils11custom_typeIddEELj256ELj4ELj100EEvPKT0_PKjPS4_.kd
    .uniform_work_group_size: 1
    .uses_dynamic_stack: false
    .vgpr_count:     27
    .vgpr_spill_count: 0
    .wavefront_size: 32
  - .args:
      - .address_space:  global
        .offset:         0
        .size:           8
        .value_kind:     global_buffer
      - .address_space:  global
        .offset:         8
        .size:           8
        .value_kind:     global_buffer
      - .address_space:  global
        .offset:         16
        .size:           8
        .value_kind:     global_buffer
    .group_segment_fixed_size: 28672
    .kernarg_segment_align: 8
    .kernarg_segment_size: 24
    .language:       OpenCL C
    .language_version:
      - 2
      - 0
    .max_flat_workgroup_size: 256
    .name:           _Z6kernelI18scatter_to_blockedN15benchmark_utils11custom_typeIddEELj256ELj7ELj100EEvPKT0_PKjPS4_
    .private_segment_fixed_size: 0
    .sgpr_count:     10
    .sgpr_spill_count: 0
    .symbol:         _Z6kernelI18scatter_to_blockedN15benchmark_utils11custom_typeIddEELj256ELj7ELj100EEvPKT0_PKjPS4_.kd
    .uniform_work_group_size: 1
    .uses_dynamic_stack: false
    .vgpr_count:     37
    .vgpr_spill_count: 0
    .wavefront_size: 32
  - .args:
      - .address_space:  global
        .offset:         0
        .size:           8
        .value_kind:     global_buffer
      - .address_space:  global
        .offset:         8
        .size:           8
        .value_kind:     global_buffer
      - .address_space:  global
        .offset:         16
        .size:           8
        .value_kind:     global_buffer
    .group_segment_fixed_size: 33792
    .kernarg_segment_align: 8
    .kernarg_segment_size: 24
    .language:       OpenCL C
    .language_version:
      - 2
      - 0
    .max_flat_workgroup_size: 256
    .name:           _Z6kernelI18scatter_to_blockedN15benchmark_utils11custom_typeIddEELj256ELj8ELj100EEvPKT0_PKjPS4_
    .private_segment_fixed_size: 0
    .sgpr_count:     10
    .sgpr_spill_count: 0
    .symbol:         _Z6kernelI18scatter_to_blockedN15benchmark_utils11custom_typeIddEELj256ELj8ELj100EEvPKT0_PKjPS4_.kd
    .uniform_work_group_size: 1
    .uses_dynamic_stack: false
    .vgpr_count:     51
    .vgpr_spill_count: 0
    .wavefront_size: 32
  - .args:
      - .address_space:  global
        .offset:         0
        .size:           8
        .value_kind:     global_buffer
      - .address_space:  global
        .offset:         8
        .size:           8
        .value_kind:     global_buffer
      - .address_space:  global
        .offset:         16
        .size:           8
        .value_kind:     global_buffer
    .group_segment_fixed_size: 1024
    .kernarg_segment_align: 8
    .kernarg_segment_size: 24
    .language:       OpenCL C
    .language_version:
      - 2
      - 0
    .max_flat_workgroup_size: 256
    .name:           _Z6kernelI18scatter_to_stripediLj256ELj1ELj100EEvPKT0_PKjPS1_
    .private_segment_fixed_size: 0
    .sgpr_count:     9
    .sgpr_spill_count: 0
    .symbol:         _Z6kernelI18scatter_to_stripediLj256ELj1ELj100EEvPKT0_PKjPS1_.kd
    .uniform_work_group_size: 1
    .uses_dynamic_stack: false
    .vgpr_count:     4
    .vgpr_spill_count: 0
    .wavefront_size: 32
  - .args:
      - .address_space:  global
        .offset:         0
        .size:           8
        .value_kind:     global_buffer
      - .address_space:  global
        .offset:         8
        .size:           8
        .value_kind:     global_buffer
      - .address_space:  global
        .offset:         16
        .size:           8
        .value_kind:     global_buffer
    .group_segment_fixed_size: 2112
    .kernarg_segment_align: 8
    .kernarg_segment_size: 24
    .language:       OpenCL C
    .language_version:
      - 2
      - 0
    .max_flat_workgroup_size: 256
    .name:           _Z6kernelI18scatter_to_stripediLj256ELj2ELj100EEvPKT0_PKjPS1_
    .private_segment_fixed_size: 0
    .sgpr_count:     9
    .sgpr_spill_count: 0
    .symbol:         _Z6kernelI18scatter_to_stripediLj256ELj2ELj100EEvPKT0_PKjPS1_.kd
    .uniform_work_group_size: 1
    .uses_dynamic_stack: false
    .vgpr_count:     6
    .vgpr_spill_count: 0
    .wavefront_size: 32
  - .args:
      - .address_space:  global
        .offset:         0
        .size:           8
        .value_kind:     global_buffer
      - .address_space:  global
        .offset:         8
        .size:           8
        .value_kind:     global_buffer
      - .address_space:  global
        .offset:         16
        .size:           8
        .value_kind:     global_buffer
    .group_segment_fixed_size: 3072
    .kernarg_segment_align: 8
    .kernarg_segment_size: 24
    .language:       OpenCL C
    .language_version:
      - 2
      - 0
    .max_flat_workgroup_size: 256
    .name:           _Z6kernelI18scatter_to_stripediLj256ELj3ELj100EEvPKT0_PKjPS1_
    .private_segment_fixed_size: 0
    .sgpr_count:     9
    .sgpr_spill_count: 0
    .symbol:         _Z6kernelI18scatter_to_stripediLj256ELj3ELj100EEvPKT0_PKjPS1_.kd
    .uniform_work_group_size: 1
    .uses_dynamic_stack: false
    .vgpr_count:     8
    .vgpr_spill_count: 0
    .wavefront_size: 32
  - .args:
      - .address_space:  global
        .offset:         0
        .size:           8
        .value_kind:     global_buffer
      - .address_space:  global
        .offset:         8
        .size:           8
        .value_kind:     global_buffer
      - .address_space:  global
        .offset:         16
        .size:           8
        .value_kind:     global_buffer
    .group_segment_fixed_size: 4224
    .kernarg_segment_align: 8
    .kernarg_segment_size: 24
    .language:       OpenCL C
    .language_version:
      - 2
      - 0
    .max_flat_workgroup_size: 256
    .name:           _Z6kernelI18scatter_to_stripediLj256ELj4ELj100EEvPKT0_PKjPS1_
    .private_segment_fixed_size: 0
    .sgpr_count:     9
    .sgpr_spill_count: 0
    .symbol:         _Z6kernelI18scatter_to_stripediLj256ELj4ELj100EEvPKT0_PKjPS1_.kd
    .uniform_work_group_size: 1
    .uses_dynamic_stack: false
    .vgpr_count:     10
    .vgpr_spill_count: 0
    .wavefront_size: 32
  - .args:
      - .address_space:  global
        .offset:         0
        .size:           8
        .value_kind:     global_buffer
      - .address_space:  global
        .offset:         8
        .size:           8
        .value_kind:     global_buffer
      - .address_space:  global
        .offset:         16
        .size:           8
        .value_kind:     global_buffer
    .group_segment_fixed_size: 7168
    .kernarg_segment_align: 8
    .kernarg_segment_size: 24
    .language:       OpenCL C
    .language_version:
      - 2
      - 0
    .max_flat_workgroup_size: 256
    .name:           _Z6kernelI18scatter_to_stripediLj256ELj7ELj100EEvPKT0_PKjPS1_
    .private_segment_fixed_size: 0
    .sgpr_count:     9
    .sgpr_spill_count: 0
    .symbol:         _Z6kernelI18scatter_to_stripediLj256ELj7ELj100EEvPKT0_PKjPS1_.kd
    .uniform_work_group_size: 1
    .uses_dynamic_stack: false
    .vgpr_count:     16
    .vgpr_spill_count: 0
    .wavefront_size: 32
  - .args:
      - .address_space:  global
        .offset:         0
        .size:           8
        .value_kind:     global_buffer
      - .address_space:  global
        .offset:         8
        .size:           8
        .value_kind:     global_buffer
      - .address_space:  global
        .offset:         16
        .size:           8
        .value_kind:     global_buffer
    .group_segment_fixed_size: 8448
    .kernarg_segment_align: 8
    .kernarg_segment_size: 24
    .language:       OpenCL C
    .language_version:
      - 2
      - 0
    .max_flat_workgroup_size: 256
    .name:           _Z6kernelI18scatter_to_stripediLj256ELj8ELj100EEvPKT0_PKjPS1_
    .private_segment_fixed_size: 0
    .sgpr_count:     9
    .sgpr_spill_count: 0
    .symbol:         _Z6kernelI18scatter_to_stripediLj256ELj8ELj100EEvPKT0_PKjPS1_.kd
    .uniform_work_group_size: 1
    .uses_dynamic_stack: false
    .vgpr_count:     18
    .vgpr_spill_count: 0
    .wavefront_size: 32
  - .args:
      - .address_space:  global
        .offset:         0
        .size:           8
        .value_kind:     global_buffer
      - .address_space:  global
        .offset:         8
        .size:           8
        .value_kind:     global_buffer
      - .address_space:  global
        .offset:         16
        .size:           8
        .value_kind:     global_buffer
    .group_segment_fixed_size: 256
    .kernarg_segment_align: 8
    .kernarg_segment_size: 24
    .language:       OpenCL C
    .language_version:
      - 2
      - 0
    .max_flat_workgroup_size: 256
    .name:           _Z6kernelI18scatter_to_stripedaLj256ELj1ELj100EEvPKT0_PKjPS1_
    .private_segment_fixed_size: 0
    .sgpr_count:     10
    .sgpr_spill_count: 0
    .symbol:         _Z6kernelI18scatter_to_stripedaLj256ELj1ELj100EEvPKT0_PKjPS1_.kd
    .uniform_work_group_size: 1
    .uses_dynamic_stack: false
    .vgpr_count:     4
    .vgpr_spill_count: 0
    .wavefront_size: 32
  - .args:
      - .address_space:  global
        .offset:         0
        .size:           8
        .value_kind:     global_buffer
      - .address_space:  global
        .offset:         8
        .size:           8
        .value_kind:     global_buffer
      - .address_space:  global
        .offset:         16
        .size:           8
        .value_kind:     global_buffer
    .group_segment_fixed_size: 528
    .kernarg_segment_align: 8
    .kernarg_segment_size: 24
    .language:       OpenCL C
    .language_version:
      - 2
      - 0
    .max_flat_workgroup_size: 256
    .name:           _Z6kernelI18scatter_to_stripedaLj256ELj2ELj100EEvPKT0_PKjPS1_
    .private_segment_fixed_size: 0
    .sgpr_count:     10
    .sgpr_spill_count: 0
    .symbol:         _Z6kernelI18scatter_to_stripedaLj256ELj2ELj100EEvPKT0_PKjPS1_.kd
    .uniform_work_group_size: 1
    .uses_dynamic_stack: false
    .vgpr_count:     7
    .vgpr_spill_count: 0
    .wavefront_size: 32
  - .args:
      - .address_space:  global
        .offset:         0
        .size:           8
        .value_kind:     global_buffer
      - .address_space:  global
        .offset:         8
        .size:           8
        .value_kind:     global_buffer
      - .address_space:  global
        .offset:         16
        .size:           8
        .value_kind:     global_buffer
    .group_segment_fixed_size: 768
    .kernarg_segment_align: 8
    .kernarg_segment_size: 24
    .language:       OpenCL C
    .language_version:
      - 2
      - 0
    .max_flat_workgroup_size: 256
    .name:           _Z6kernelI18scatter_to_stripedaLj256ELj3ELj100EEvPKT0_PKjPS1_
    .private_segment_fixed_size: 0
    .sgpr_count:     10
    .sgpr_spill_count: 0
    .symbol:         _Z6kernelI18scatter_to_stripedaLj256ELj3ELj100EEvPKT0_PKjPS1_.kd
    .uniform_work_group_size: 1
    .uses_dynamic_stack: false
    .vgpr_count:     10
    .vgpr_spill_count: 0
    .wavefront_size: 32
  - .args:
      - .address_space:  global
        .offset:         0
        .size:           8
        .value_kind:     global_buffer
      - .address_space:  global
        .offset:         8
        .size:           8
        .value_kind:     global_buffer
      - .address_space:  global
        .offset:         16
        .size:           8
        .value_kind:     global_buffer
    .group_segment_fixed_size: 1056
    .kernarg_segment_align: 8
    .kernarg_segment_size: 24
    .language:       OpenCL C
    .language_version:
      - 2
      - 0
    .max_flat_workgroup_size: 256
    .name:           _Z6kernelI18scatter_to_stripedaLj256ELj4ELj100EEvPKT0_PKjPS1_
    .private_segment_fixed_size: 0
    .sgpr_count:     10
    .sgpr_spill_count: 0
    .symbol:         _Z6kernelI18scatter_to_stripedaLj256ELj4ELj100EEvPKT0_PKjPS1_.kd
    .uniform_work_group_size: 1
    .uses_dynamic_stack: false
    .vgpr_count:     12
    .vgpr_spill_count: 0
    .wavefront_size: 32
  - .args:
      - .address_space:  global
        .offset:         0
        .size:           8
        .value_kind:     global_buffer
      - .address_space:  global
        .offset:         8
        .size:           8
        .value_kind:     global_buffer
      - .address_space:  global
        .offset:         16
        .size:           8
        .value_kind:     global_buffer
    .group_segment_fixed_size: 1792
    .kernarg_segment_align: 8
    .kernarg_segment_size: 24
    .language:       OpenCL C
    .language_version:
      - 2
      - 0
    .max_flat_workgroup_size: 256
    .name:           _Z6kernelI18scatter_to_stripedaLj256ELj7ELj100EEvPKT0_PKjPS1_
    .private_segment_fixed_size: 0
    .sgpr_count:     10
    .sgpr_spill_count: 0
    .symbol:         _Z6kernelI18scatter_to_stripedaLj256ELj7ELj100EEvPKT0_PKjPS1_.kd
    .uniform_work_group_size: 1
    .uses_dynamic_stack: false
    .vgpr_count:     18
    .vgpr_spill_count: 0
    .wavefront_size: 32
  - .args:
      - .address_space:  global
        .offset:         0
        .size:           8
        .value_kind:     global_buffer
      - .address_space:  global
        .offset:         8
        .size:           8
        .value_kind:     global_buffer
      - .address_space:  global
        .offset:         16
        .size:           8
        .value_kind:     global_buffer
    .group_segment_fixed_size: 2112
    .kernarg_segment_align: 8
    .kernarg_segment_size: 24
    .language:       OpenCL C
    .language_version:
      - 2
      - 0
    .max_flat_workgroup_size: 256
    .name:           _Z6kernelI18scatter_to_stripedaLj256ELj8ELj100EEvPKT0_PKjPS1_
    .private_segment_fixed_size: 0
    .sgpr_count:     10
    .sgpr_spill_count: 0
    .symbol:         _Z6kernelI18scatter_to_stripedaLj256ELj8ELj100EEvPKT0_PKjPS1_.kd
    .uniform_work_group_size: 1
    .uses_dynamic_stack: false
    .vgpr_count:     22
    .vgpr_spill_count: 0
    .wavefront_size: 32
  - .args:
      - .address_space:  global
        .offset:         0
        .size:           8
        .value_kind:     global_buffer
      - .address_space:  global
        .offset:         8
        .size:           8
        .value_kind:     global_buffer
      - .address_space:  global
        .offset:         16
        .size:           8
        .value_kind:     global_buffer
    .group_segment_fixed_size: 2048
    .kernarg_segment_align: 8
    .kernarg_segment_size: 24
    .language:       OpenCL C
    .language_version:
      - 2
      - 0
    .max_flat_workgroup_size: 256
    .name:           _Z6kernelI18scatter_to_stripedxLj256ELj1ELj100EEvPKT0_PKjPS1_
    .private_segment_fixed_size: 0
    .sgpr_count:     10
    .sgpr_spill_count: 0
    .symbol:         _Z6kernelI18scatter_to_stripedxLj256ELj1ELj100EEvPKT0_PKjPS1_.kd
    .uniform_work_group_size: 1
    .uses_dynamic_stack: false
    .vgpr_count:     5
    .vgpr_spill_count: 0
    .wavefront_size: 32
  - .args:
      - .address_space:  global
        .offset:         0
        .size:           8
        .value_kind:     global_buffer
      - .address_space:  global
        .offset:         8
        .size:           8
        .value_kind:     global_buffer
      - .address_space:  global
        .offset:         16
        .size:           8
        .value_kind:     global_buffer
    .group_segment_fixed_size: 4224
    .kernarg_segment_align: 8
    .kernarg_segment_size: 24
    .language:       OpenCL C
    .language_version:
      - 2
      - 0
    .max_flat_workgroup_size: 256
    .name:           _Z6kernelI18scatter_to_stripedxLj256ELj2ELj100EEvPKT0_PKjPS1_
    .private_segment_fixed_size: 0
    .sgpr_count:     10
    .sgpr_spill_count: 0
    .symbol:         _Z6kernelI18scatter_to_stripedxLj256ELj2ELj100EEvPKT0_PKjPS1_.kd
    .uniform_work_group_size: 1
    .uses_dynamic_stack: false
    .vgpr_count:     8
    .vgpr_spill_count: 0
    .wavefront_size: 32
  - .args:
      - .address_space:  global
        .offset:         0
        .size:           8
        .value_kind:     global_buffer
      - .address_space:  global
        .offset:         8
        .size:           8
        .value_kind:     global_buffer
      - .address_space:  global
        .offset:         16
        .size:           8
        .value_kind:     global_buffer
    .group_segment_fixed_size: 6144
    .kernarg_segment_align: 8
    .kernarg_segment_size: 24
    .language:       OpenCL C
    .language_version:
      - 2
      - 0
    .max_flat_workgroup_size: 256
    .name:           _Z6kernelI18scatter_to_stripedxLj256ELj3ELj100EEvPKT0_PKjPS1_
    .private_segment_fixed_size: 0
    .sgpr_count:     10
    .sgpr_spill_count: 0
    .symbol:         _Z6kernelI18scatter_to_stripedxLj256ELj3ELj100EEvPKT0_PKjPS1_.kd
    .uniform_work_group_size: 1
    .uses_dynamic_stack: false
    .vgpr_count:     11
    .vgpr_spill_count: 0
    .wavefront_size: 32
  - .args:
      - .address_space:  global
        .offset:         0
        .size:           8
        .value_kind:     global_buffer
      - .address_space:  global
        .offset:         8
        .size:           8
        .value_kind:     global_buffer
      - .address_space:  global
        .offset:         16
        .size:           8
        .value_kind:     global_buffer
    .group_segment_fixed_size: 8448
    .kernarg_segment_align: 8
    .kernarg_segment_size: 24
    .language:       OpenCL C
    .language_version:
      - 2
      - 0
    .max_flat_workgroup_size: 256
    .name:           _Z6kernelI18scatter_to_stripedxLj256ELj4ELj100EEvPKT0_PKjPS1_
    .private_segment_fixed_size: 0
    .sgpr_count:     10
    .sgpr_spill_count: 0
    .symbol:         _Z6kernelI18scatter_to_stripedxLj256ELj4ELj100EEvPKT0_PKjPS1_.kd
    .uniform_work_group_size: 1
    .uses_dynamic_stack: false
    .vgpr_count:     14
    .vgpr_spill_count: 0
    .wavefront_size: 32
  - .args:
      - .address_space:  global
        .offset:         0
        .size:           8
        .value_kind:     global_buffer
      - .address_space:  global
        .offset:         8
        .size:           8
        .value_kind:     global_buffer
      - .address_space:  global
        .offset:         16
        .size:           8
        .value_kind:     global_buffer
    .group_segment_fixed_size: 14336
    .kernarg_segment_align: 8
    .kernarg_segment_size: 24
    .language:       OpenCL C
    .language_version:
      - 2
      - 0
    .max_flat_workgroup_size: 256
    .name:           _Z6kernelI18scatter_to_stripedxLj256ELj7ELj100EEvPKT0_PKjPS1_
    .private_segment_fixed_size: 0
    .sgpr_count:     10
    .sgpr_spill_count: 0
    .symbol:         _Z6kernelI18scatter_to_stripedxLj256ELj7ELj100EEvPKT0_PKjPS1_.kd
    .uniform_work_group_size: 1
    .uses_dynamic_stack: false
    .vgpr_count:     23
    .vgpr_spill_count: 0
    .wavefront_size: 32
  - .args:
      - .address_space:  global
        .offset:         0
        .size:           8
        .value_kind:     global_buffer
      - .address_space:  global
        .offset:         8
        .size:           8
        .value_kind:     global_buffer
      - .address_space:  global
        .offset:         16
        .size:           8
        .value_kind:     global_buffer
    .group_segment_fixed_size: 16896
    .kernarg_segment_align: 8
    .kernarg_segment_size: 24
    .language:       OpenCL C
    .language_version:
      - 2
      - 0
    .max_flat_workgroup_size: 256
    .name:           _Z6kernelI18scatter_to_stripedxLj256ELj8ELj100EEvPKT0_PKjPS1_
    .private_segment_fixed_size: 0
    .sgpr_count:     10
    .sgpr_spill_count: 0
    .symbol:         _Z6kernelI18scatter_to_stripedxLj256ELj8ELj100EEvPKT0_PKjPS1_.kd
    .uniform_work_group_size: 1
    .uses_dynamic_stack: false
    .vgpr_count:     26
    .vgpr_spill_count: 0
    .wavefront_size: 32
  - .args:
      - .address_space:  global
        .offset:         0
        .size:           8
        .value_kind:     global_buffer
      - .address_space:  global
        .offset:         8
        .size:           8
        .value_kind:     global_buffer
      - .address_space:  global
        .offset:         16
        .size:           8
        .value_kind:     global_buffer
    .group_segment_fixed_size: 2048
    .kernarg_segment_align: 8
    .kernarg_segment_size: 24
    .language:       OpenCL C
    .language_version:
      - 2
      - 0
    .max_flat_workgroup_size: 256
    .name:           _Z6kernelI18scatter_to_stripedN15benchmark_utils11custom_typeIffEELj256ELj1ELj100EEvPKT0_PKjPS4_
    .private_segment_fixed_size: 0
    .sgpr_count:     10
    .sgpr_spill_count: 0
    .symbol:         _Z6kernelI18scatter_to_stripedN15benchmark_utils11custom_typeIffEELj256ELj1ELj100EEvPKT0_PKjPS4_.kd
    .uniform_work_group_size: 1
    .uses_dynamic_stack: false
    .vgpr_count:     5
    .vgpr_spill_count: 0
    .wavefront_size: 32
  - .args:
      - .address_space:  global
        .offset:         0
        .size:           8
        .value_kind:     global_buffer
      - .address_space:  global
        .offset:         8
        .size:           8
        .value_kind:     global_buffer
      - .address_space:  global
        .offset:         16
        .size:           8
        .value_kind:     global_buffer
    .group_segment_fixed_size: 4224
    .kernarg_segment_align: 8
    .kernarg_segment_size: 24
    .language:       OpenCL C
    .language_version:
      - 2
      - 0
    .max_flat_workgroup_size: 256
    .name:           _Z6kernelI18scatter_to_stripedN15benchmark_utils11custom_typeIffEELj256ELj2ELj100EEvPKT0_PKjPS4_
    .private_segment_fixed_size: 0
    .sgpr_count:     10
    .sgpr_spill_count: 0
    .symbol:         _Z6kernelI18scatter_to_stripedN15benchmark_utils11custom_typeIffEELj256ELj2ELj100EEvPKT0_PKjPS4_.kd
    .uniform_work_group_size: 1
    .uses_dynamic_stack: false
    .vgpr_count:     8
    .vgpr_spill_count: 0
    .wavefront_size: 32
  - .args:
      - .address_space:  global
        .offset:         0
        .size:           8
        .value_kind:     global_buffer
      - .address_space:  global
        .offset:         8
        .size:           8
        .value_kind:     global_buffer
      - .address_space:  global
        .offset:         16
        .size:           8
        .value_kind:     global_buffer
    .group_segment_fixed_size: 6144
    .kernarg_segment_align: 8
    .kernarg_segment_size: 24
    .language:       OpenCL C
    .language_version:
      - 2
      - 0
    .max_flat_workgroup_size: 256
    .name:           _Z6kernelI18scatter_to_stripedN15benchmark_utils11custom_typeIffEELj256ELj3ELj100EEvPKT0_PKjPS4_
    .private_segment_fixed_size: 0
    .sgpr_count:     10
    .sgpr_spill_count: 0
    .symbol:         _Z6kernelI18scatter_to_stripedN15benchmark_utils11custom_typeIffEELj256ELj3ELj100EEvPKT0_PKjPS4_.kd
    .uniform_work_group_size: 1
    .uses_dynamic_stack: false
    .vgpr_count:     11
    .vgpr_spill_count: 0
    .wavefront_size: 32
  - .args:
      - .address_space:  global
        .offset:         0
        .size:           8
        .value_kind:     global_buffer
      - .address_space:  global
        .offset:         8
        .size:           8
        .value_kind:     global_buffer
      - .address_space:  global
        .offset:         16
        .size:           8
        .value_kind:     global_buffer
    .group_segment_fixed_size: 8448
    .kernarg_segment_align: 8
    .kernarg_segment_size: 24
    .language:       OpenCL C
    .language_version:
      - 2
      - 0
    .max_flat_workgroup_size: 256
    .name:           _Z6kernelI18scatter_to_stripedN15benchmark_utils11custom_typeIffEELj256ELj4ELj100EEvPKT0_PKjPS4_
    .private_segment_fixed_size: 0
    .sgpr_count:     10
    .sgpr_spill_count: 0
    .symbol:         _Z6kernelI18scatter_to_stripedN15benchmark_utils11custom_typeIffEELj256ELj4ELj100EEvPKT0_PKjPS4_.kd
    .uniform_work_group_size: 1
    .uses_dynamic_stack: false
    .vgpr_count:     14
    .vgpr_spill_count: 0
    .wavefront_size: 32
  - .args:
      - .address_space:  global
        .offset:         0
        .size:           8
        .value_kind:     global_buffer
      - .address_space:  global
        .offset:         8
        .size:           8
        .value_kind:     global_buffer
      - .address_space:  global
        .offset:         16
        .size:           8
        .value_kind:     global_buffer
    .group_segment_fixed_size: 14336
    .kernarg_segment_align: 8
    .kernarg_segment_size: 24
    .language:       OpenCL C
    .language_version:
      - 2
      - 0
    .max_flat_workgroup_size: 256
    .name:           _Z6kernelI18scatter_to_stripedN15benchmark_utils11custom_typeIffEELj256ELj7ELj100EEvPKT0_PKjPS4_
    .private_segment_fixed_size: 0
    .sgpr_count:     10
    .sgpr_spill_count: 0
    .symbol:         _Z6kernelI18scatter_to_stripedN15benchmark_utils11custom_typeIffEELj256ELj7ELj100EEvPKT0_PKjPS4_.kd
    .uniform_work_group_size: 1
    .uses_dynamic_stack: false
    .vgpr_count:     23
    .vgpr_spill_count: 0
    .wavefront_size: 32
  - .args:
      - .address_space:  global
        .offset:         0
        .size:           8
        .value_kind:     global_buffer
      - .address_space:  global
        .offset:         8
        .size:           8
        .value_kind:     global_buffer
      - .address_space:  global
        .offset:         16
        .size:           8
        .value_kind:     global_buffer
    .group_segment_fixed_size: 16896
    .kernarg_segment_align: 8
    .kernarg_segment_size: 24
    .language:       OpenCL C
    .language_version:
      - 2
      - 0
    .max_flat_workgroup_size: 256
    .name:           _Z6kernelI18scatter_to_stripedN15benchmark_utils11custom_typeIffEELj256ELj8ELj100EEvPKT0_PKjPS4_
    .private_segment_fixed_size: 0
    .sgpr_count:     10
    .sgpr_spill_count: 0
    .symbol:         _Z6kernelI18scatter_to_stripedN15benchmark_utils11custom_typeIffEELj256ELj8ELj100EEvPKT0_PKjPS4_.kd
    .uniform_work_group_size: 1
    .uses_dynamic_stack: false
    .vgpr_count:     26
    .vgpr_spill_count: 0
    .wavefront_size: 32
  - .args:
      - .address_space:  global
        .offset:         0
        .size:           8
        .value_kind:     global_buffer
      - .address_space:  global
        .offset:         8
        .size:           8
        .value_kind:     global_buffer
      - .address_space:  global
        .offset:         16
        .size:           8
        .value_kind:     global_buffer
    .group_segment_fixed_size: 4096
    .kernarg_segment_align: 8
    .kernarg_segment_size: 24
    .language:       OpenCL C
    .language_version:
      - 2
      - 0
    .max_flat_workgroup_size: 256
    .name:           _Z6kernelI18scatter_to_stripedN15benchmark_utils11custom_typeIddEELj256ELj1ELj100EEvPKT0_PKjPS4_
    .private_segment_fixed_size: 0
    .sgpr_count:     10
    .sgpr_spill_count: 0
    .symbol:         _Z6kernelI18scatter_to_stripedN15benchmark_utils11custom_typeIddEELj256ELj1ELj100EEvPKT0_PKjPS4_.kd
    .uniform_work_group_size: 1
    .uses_dynamic_stack: false
    .vgpr_count:     7
    .vgpr_spill_count: 0
    .wavefront_size: 32
  - .args:
      - .address_space:  global
        .offset:         0
        .size:           8
        .value_kind:     global_buffer
      - .address_space:  global
        .offset:         8
        .size:           8
        .value_kind:     global_buffer
      - .address_space:  global
        .offset:         16
        .size:           8
        .value_kind:     global_buffer
    .group_segment_fixed_size: 8448
    .kernarg_segment_align: 8
    .kernarg_segment_size: 24
    .language:       OpenCL C
    .language_version:
      - 2
      - 0
    .max_flat_workgroup_size: 256
    .name:           _Z6kernelI18scatter_to_stripedN15benchmark_utils11custom_typeIddEELj256ELj2ELj100EEvPKT0_PKjPS4_
    .private_segment_fixed_size: 0
    .sgpr_count:     10
    .sgpr_spill_count: 0
    .symbol:         _Z6kernelI18scatter_to_stripedN15benchmark_utils11custom_typeIddEELj256ELj2ELj100EEvPKT0_PKjPS4_.kd
    .uniform_work_group_size: 1
    .uses_dynamic_stack: false
    .vgpr_count:     12
    .vgpr_spill_count: 0
    .wavefront_size: 32
  - .args:
      - .address_space:  global
        .offset:         0
        .size:           8
        .value_kind:     global_buffer
      - .address_space:  global
        .offset:         8
        .size:           8
        .value_kind:     global_buffer
      - .address_space:  global
        .offset:         16
        .size:           8
        .value_kind:     global_buffer
    .group_segment_fixed_size: 12288
    .kernarg_segment_align: 8
    .kernarg_segment_size: 24
    .language:       OpenCL C
    .language_version:
      - 2
      - 0
    .max_flat_workgroup_size: 256
    .name:           _Z6kernelI18scatter_to_stripedN15benchmark_utils11custom_typeIddEELj256ELj3ELj100EEvPKT0_PKjPS4_
    .private_segment_fixed_size: 0
    .sgpr_count:     10
    .sgpr_spill_count: 0
    .symbol:         _Z6kernelI18scatter_to_stripedN15benchmark_utils11custom_typeIddEELj256ELj3ELj100EEvPKT0_PKjPS4_.kd
    .uniform_work_group_size: 1
    .uses_dynamic_stack: false
    .vgpr_count:     17
    .vgpr_spill_count: 0
    .wavefront_size: 32
  - .args:
      - .address_space:  global
        .offset:         0
        .size:           8
        .value_kind:     global_buffer
      - .address_space:  global
        .offset:         8
        .size:           8
        .value_kind:     global_buffer
      - .address_space:  global
        .offset:         16
        .size:           8
        .value_kind:     global_buffer
    .group_segment_fixed_size: 16896
    .kernarg_segment_align: 8
    .kernarg_segment_size: 24
    .language:       OpenCL C
    .language_version:
      - 2
      - 0
    .max_flat_workgroup_size: 256
    .name:           _Z6kernelI18scatter_to_stripedN15benchmark_utils11custom_typeIddEELj256ELj4ELj100EEvPKT0_PKjPS4_
    .private_segment_fixed_size: 0
    .sgpr_count:     10
    .sgpr_spill_count: 0
    .symbol:         _Z6kernelI18scatter_to_stripedN15benchmark_utils11custom_typeIddEELj256ELj4ELj100EEvPKT0_PKjPS4_.kd
    .uniform_work_group_size: 1
    .uses_dynamic_stack: false
    .vgpr_count:     22
    .vgpr_spill_count: 0
    .wavefront_size: 32
  - .args:
      - .address_space:  global
        .offset:         0
        .size:           8
        .value_kind:     global_buffer
      - .address_space:  global
        .offset:         8
        .size:           8
        .value_kind:     global_buffer
      - .address_space:  global
        .offset:         16
        .size:           8
        .value_kind:     global_buffer
    .group_segment_fixed_size: 28672
    .kernarg_segment_align: 8
    .kernarg_segment_size: 24
    .language:       OpenCL C
    .language_version:
      - 2
      - 0
    .max_flat_workgroup_size: 256
    .name:           _Z6kernelI18scatter_to_stripedN15benchmark_utils11custom_typeIddEELj256ELj7ELj100EEvPKT0_PKjPS4_
    .private_segment_fixed_size: 0
    .sgpr_count:     10
    .sgpr_spill_count: 0
    .symbol:         _Z6kernelI18scatter_to_stripedN15benchmark_utils11custom_typeIddEELj256ELj7ELj100EEvPKT0_PKjPS4_.kd
    .uniform_work_group_size: 1
    .uses_dynamic_stack: false
    .vgpr_count:     37
    .vgpr_spill_count: 0
    .wavefront_size: 32
  - .args:
      - .address_space:  global
        .offset:         0
        .size:           8
        .value_kind:     global_buffer
      - .address_space:  global
        .offset:         8
        .size:           8
        .value_kind:     global_buffer
      - .address_space:  global
        .offset:         16
        .size:           8
        .value_kind:     global_buffer
    .group_segment_fixed_size: 33792
    .kernarg_segment_align: 8
    .kernarg_segment_size: 24
    .language:       OpenCL C
    .language_version:
      - 2
      - 0
    .max_flat_workgroup_size: 256
    .name:           _Z6kernelI18scatter_to_stripedN15benchmark_utils11custom_typeIddEELj256ELj8ELj100EEvPKT0_PKjPS4_
    .private_segment_fixed_size: 0
    .sgpr_count:     10
    .sgpr_spill_count: 0
    .symbol:         _Z6kernelI18scatter_to_stripedN15benchmark_utils11custom_typeIddEELj256ELj8ELj100EEvPKT0_PKjPS4_.kd
    .uniform_work_group_size: 1
    .uses_dynamic_stack: false
    .vgpr_count:     42
    .vgpr_spill_count: 0
    .wavefront_size: 32
amdhsa.target:   amdgcn-amd-amdhsa--gfx1250
amdhsa.version:
  - 1
  - 2
...

	.end_amdgpu_metadata
